;; amdgpu-corpus repo=ROCm/rocFFT kind=compiled arch=gfx906 opt=O3
	.text
	.amdgcn_target "amdgcn-amd-amdhsa--gfx906"
	.amdhsa_code_object_version 6
	.protected	fft_rtc_back_len1352_factors_2_13_13_4_wgs_52_tpt_52_halfLds_dp_ip_CI_sbrr_dirReg ; -- Begin function fft_rtc_back_len1352_factors_2_13_13_4_wgs_52_tpt_52_halfLds_dp_ip_CI_sbrr_dirReg
	.globl	fft_rtc_back_len1352_factors_2_13_13_4_wgs_52_tpt_52_halfLds_dp_ip_CI_sbrr_dirReg
	.p2align	8
	.type	fft_rtc_back_len1352_factors_2_13_13_4_wgs_52_tpt_52_halfLds_dp_ip_CI_sbrr_dirReg,@function
fft_rtc_back_len1352_factors_2_13_13_4_wgs_52_tpt_52_halfLds_dp_ip_CI_sbrr_dirReg: ; @fft_rtc_back_len1352_factors_2_13_13_4_wgs_52_tpt_52_halfLds_dp_ip_CI_sbrr_dirReg
; %bb.0:
	s_load_dwordx2 s[2:3], s[4:5], 0x18
	s_load_dwordx4 s[8:11], s[4:5], 0x0
	s_load_dwordx2 s[14:15], s[4:5], 0x50
	v_mul_u32_u24_e32 v1, 0x4ed, v0
	v_add_u32_sdwa v5, s6, v1 dst_sel:DWORD dst_unused:UNUSED_PAD src0_sel:DWORD src1_sel:WORD_1
	s_waitcnt lgkmcnt(0)
	s_load_dwordx2 s[12:13], s[2:3], 0x0
	v_cmp_lt_u64_e64 s[0:1], s[10:11], 2
	v_mov_b32_e32 v3, 0
	v_mov_b32_e32 v1, 0
	;; [unrolled: 1-line block ×3, first 2 shown]
	s_and_b64 vcc, exec, s[0:1]
	v_mov_b32_e32 v2, 0
	s_cbranch_vccnz .LBB0_8
; %bb.1:
	s_load_dwordx2 s[0:1], s[4:5], 0x10
	s_add_u32 s6, s2, 8
	s_addc_u32 s7, s3, 0
	v_mov_b32_e32 v1, 0
	v_mov_b32_e32 v2, 0
	s_waitcnt lgkmcnt(0)
	s_add_u32 s16, s0, 8
	s_addc_u32 s17, s1, 0
	s_mov_b64 s[18:19], 1
.LBB0_2:                                ; =>This Inner Loop Header: Depth=1
	s_load_dwordx2 s[20:21], s[16:17], 0x0
                                        ; implicit-def: $vgpr7_vgpr8
	s_waitcnt lgkmcnt(0)
	v_or_b32_e32 v4, s21, v6
	v_cmp_ne_u64_e32 vcc, 0, v[3:4]
	s_and_saveexec_b64 s[0:1], vcc
	s_xor_b64 s[22:23], exec, s[0:1]
	s_cbranch_execz .LBB0_4
; %bb.3:                                ;   in Loop: Header=BB0_2 Depth=1
	v_cvt_f32_u32_e32 v4, s20
	v_cvt_f32_u32_e32 v7, s21
	s_sub_u32 s0, 0, s20
	s_subb_u32 s1, 0, s21
	v_mac_f32_e32 v4, 0x4f800000, v7
	v_rcp_f32_e32 v4, v4
	v_mul_f32_e32 v4, 0x5f7ffffc, v4
	v_mul_f32_e32 v7, 0x2f800000, v4
	v_trunc_f32_e32 v7, v7
	v_mac_f32_e32 v4, 0xcf800000, v7
	v_cvt_u32_f32_e32 v7, v7
	v_cvt_u32_f32_e32 v4, v4
	v_mul_lo_u32 v8, s0, v7
	v_mul_hi_u32 v9, s0, v4
	v_mul_lo_u32 v11, s1, v4
	v_mul_lo_u32 v10, s0, v4
	v_add_u32_e32 v8, v9, v8
	v_add_u32_e32 v8, v8, v11
	v_mul_hi_u32 v9, v4, v10
	v_mul_lo_u32 v11, v4, v8
	v_mul_hi_u32 v13, v4, v8
	v_mul_hi_u32 v12, v7, v10
	v_mul_lo_u32 v10, v7, v10
	v_mul_hi_u32 v14, v7, v8
	v_add_co_u32_e32 v9, vcc, v9, v11
	v_addc_co_u32_e32 v11, vcc, 0, v13, vcc
	v_mul_lo_u32 v8, v7, v8
	v_add_co_u32_e32 v9, vcc, v9, v10
	v_addc_co_u32_e32 v9, vcc, v11, v12, vcc
	v_addc_co_u32_e32 v10, vcc, 0, v14, vcc
	v_add_co_u32_e32 v8, vcc, v9, v8
	v_addc_co_u32_e32 v9, vcc, 0, v10, vcc
	v_add_co_u32_e32 v4, vcc, v4, v8
	v_addc_co_u32_e32 v7, vcc, v7, v9, vcc
	v_mul_lo_u32 v8, s0, v7
	v_mul_hi_u32 v9, s0, v4
	v_mul_lo_u32 v10, s1, v4
	v_mul_lo_u32 v11, s0, v4
	v_add_u32_e32 v8, v9, v8
	v_add_u32_e32 v8, v8, v10
	v_mul_lo_u32 v12, v4, v8
	v_mul_hi_u32 v13, v4, v11
	v_mul_hi_u32 v14, v4, v8
	;; [unrolled: 1-line block ×3, first 2 shown]
	v_mul_lo_u32 v11, v7, v11
	v_mul_hi_u32 v9, v7, v8
	v_add_co_u32_e32 v12, vcc, v13, v12
	v_addc_co_u32_e32 v13, vcc, 0, v14, vcc
	v_mul_lo_u32 v8, v7, v8
	v_add_co_u32_e32 v11, vcc, v12, v11
	v_addc_co_u32_e32 v10, vcc, v13, v10, vcc
	v_addc_co_u32_e32 v9, vcc, 0, v9, vcc
	v_add_co_u32_e32 v8, vcc, v10, v8
	v_addc_co_u32_e32 v9, vcc, 0, v9, vcc
	v_add_co_u32_e32 v4, vcc, v4, v8
	v_addc_co_u32_e32 v9, vcc, v7, v9, vcc
	v_mad_u64_u32 v[7:8], s[0:1], v5, v9, 0
	v_mul_hi_u32 v10, v5, v4
	v_add_co_u32_e32 v11, vcc, v10, v7
	v_addc_co_u32_e32 v12, vcc, 0, v8, vcc
	v_mad_u64_u32 v[7:8], s[0:1], v6, v4, 0
	v_mad_u64_u32 v[9:10], s[0:1], v6, v9, 0
	v_add_co_u32_e32 v4, vcc, v11, v7
	v_addc_co_u32_e32 v4, vcc, v12, v8, vcc
	v_addc_co_u32_e32 v7, vcc, 0, v10, vcc
	v_add_co_u32_e32 v4, vcc, v4, v9
	v_addc_co_u32_e32 v9, vcc, 0, v7, vcc
	v_mul_lo_u32 v10, s21, v4
	v_mul_lo_u32 v11, s20, v9
	v_mad_u64_u32 v[7:8], s[0:1], s20, v4, 0
	v_add3_u32 v8, v8, v11, v10
	v_sub_u32_e32 v10, v6, v8
	v_mov_b32_e32 v11, s21
	v_sub_co_u32_e32 v7, vcc, v5, v7
	v_subb_co_u32_e64 v10, s[0:1], v10, v11, vcc
	v_subrev_co_u32_e64 v11, s[0:1], s20, v7
	v_subbrev_co_u32_e64 v10, s[0:1], 0, v10, s[0:1]
	v_cmp_le_u32_e64 s[0:1], s21, v10
	v_cndmask_b32_e64 v12, 0, -1, s[0:1]
	v_cmp_le_u32_e64 s[0:1], s20, v11
	v_cndmask_b32_e64 v11, 0, -1, s[0:1]
	v_cmp_eq_u32_e64 s[0:1], s21, v10
	v_cndmask_b32_e64 v10, v12, v11, s[0:1]
	v_add_co_u32_e64 v11, s[0:1], 2, v4
	v_addc_co_u32_e64 v12, s[0:1], 0, v9, s[0:1]
	v_add_co_u32_e64 v13, s[0:1], 1, v4
	v_addc_co_u32_e64 v14, s[0:1], 0, v9, s[0:1]
	v_subb_co_u32_e32 v8, vcc, v6, v8, vcc
	v_cmp_ne_u32_e64 s[0:1], 0, v10
	v_cmp_le_u32_e32 vcc, s21, v8
	v_cndmask_b32_e64 v10, v14, v12, s[0:1]
	v_cndmask_b32_e64 v12, 0, -1, vcc
	v_cmp_le_u32_e32 vcc, s20, v7
	v_cndmask_b32_e64 v7, 0, -1, vcc
	v_cmp_eq_u32_e32 vcc, s21, v8
	v_cndmask_b32_e32 v7, v12, v7, vcc
	v_cmp_ne_u32_e32 vcc, 0, v7
	v_cndmask_b32_e64 v7, v13, v11, s[0:1]
	v_cndmask_b32_e32 v8, v9, v10, vcc
	v_cndmask_b32_e32 v7, v4, v7, vcc
.LBB0_4:                                ;   in Loop: Header=BB0_2 Depth=1
	s_andn2_saveexec_b64 s[0:1], s[22:23]
	s_cbranch_execz .LBB0_6
; %bb.5:                                ;   in Loop: Header=BB0_2 Depth=1
	v_cvt_f32_u32_e32 v4, s20
	s_sub_i32 s22, 0, s20
	v_rcp_iflag_f32_e32 v4, v4
	v_mul_f32_e32 v4, 0x4f7ffffe, v4
	v_cvt_u32_f32_e32 v4, v4
	v_mul_lo_u32 v7, s22, v4
	v_mul_hi_u32 v7, v4, v7
	v_add_u32_e32 v4, v4, v7
	v_mul_hi_u32 v4, v5, v4
	v_mul_lo_u32 v7, v4, s20
	v_add_u32_e32 v8, 1, v4
	v_sub_u32_e32 v7, v5, v7
	v_subrev_u32_e32 v9, s20, v7
	v_cmp_le_u32_e32 vcc, s20, v7
	v_cndmask_b32_e32 v7, v7, v9, vcc
	v_cndmask_b32_e32 v4, v4, v8, vcc
	v_add_u32_e32 v8, 1, v4
	v_cmp_le_u32_e32 vcc, s20, v7
	v_cndmask_b32_e32 v7, v4, v8, vcc
	v_mov_b32_e32 v8, v3
.LBB0_6:                                ;   in Loop: Header=BB0_2 Depth=1
	s_or_b64 exec, exec, s[0:1]
	v_mul_lo_u32 v4, v8, s20
	v_mul_lo_u32 v11, v7, s21
	v_mad_u64_u32 v[9:10], s[0:1], v7, s20, 0
	s_load_dwordx2 s[0:1], s[6:7], 0x0
	s_add_u32 s18, s18, 1
	v_add3_u32 v4, v10, v11, v4
	v_sub_co_u32_e32 v5, vcc, v5, v9
	v_subb_co_u32_e32 v4, vcc, v6, v4, vcc
	s_waitcnt lgkmcnt(0)
	v_mul_lo_u32 v4, s0, v4
	v_mul_lo_u32 v6, s1, v5
	v_mad_u64_u32 v[1:2], s[0:1], s0, v5, v[1:2]
	s_addc_u32 s19, s19, 0
	s_add_u32 s6, s6, 8
	v_add3_u32 v2, v6, v2, v4
	v_mov_b32_e32 v4, s10
	v_mov_b32_e32 v5, s11
	s_addc_u32 s7, s7, 0
	v_cmp_ge_u64_e32 vcc, s[18:19], v[4:5]
	s_add_u32 s16, s16, 8
	s_addc_u32 s17, s17, 0
	s_cbranch_vccnz .LBB0_9
; %bb.7:                                ;   in Loop: Header=BB0_2 Depth=1
	v_mov_b32_e32 v5, v7
	v_mov_b32_e32 v6, v8
	s_branch .LBB0_2
.LBB0_8:
	v_mov_b32_e32 v8, v6
	v_mov_b32_e32 v7, v5
.LBB0_9:
	s_lshl_b64 s[0:1], s[10:11], 3
	s_add_u32 s0, s2, s0
	s_addc_u32 s1, s3, s1
	s_load_dwordx2 s[2:3], s[0:1], 0x0
	s_load_dwordx2 s[6:7], s[4:5], 0x20
                                        ; implicit-def: $vgpr185
                                        ; implicit-def: $vgpr180
                                        ; implicit-def: $vgpr181
                                        ; implicit-def: $vgpr182
                                        ; implicit-def: $vgpr183
                                        ; implicit-def: $vgpr184
                                        ; implicit-def: $vgpr104
                                        ; implicit-def: $vgpr105
                                        ; implicit-def: $vgpr106
	s_waitcnt lgkmcnt(0)
	v_mad_u64_u32 v[1:2], s[0:1], s2, v7, v[1:2]
	s_mov_b32 s0, 0x4ec4ec5
	v_mul_lo_u32 v3, s2, v8
	v_mul_lo_u32 v4, s3, v7
	v_mul_hi_u32 v5, v0, s0
	v_cmp_gt_u64_e32 vcc, s[6:7], v[7:8]
	v_cmp_le_u64_e64 s[0:1], s[6:7], v[7:8]
	v_add3_u32 v2, v4, v2, v3
	v_mul_u32_u24_e32 v3, 52, v5
	v_sub_u32_e32 v178, v0, v3
	v_add_u32_e32 v179, 52, v178
	s_and_saveexec_b64 s[2:3], s[0:1]
	s_xor_b64 s[0:1], exec, s[2:3]
; %bb.10:
	v_add_u32_e32 v185, 52, v178
	v_add_u32_e32 v180, 0x68, v178
	;; [unrolled: 1-line block ×9, first 2 shown]
; %bb.11:
	s_or_saveexec_b64 s[2:3], s[0:1]
	v_lshlrev_b64 v[112:113], 4, v[1:2]
                                        ; implicit-def: $vgpr10_vgpr11
                                        ; implicit-def: $vgpr6_vgpr7
                                        ; implicit-def: $vgpr34_vgpr35
                                        ; implicit-def: $vgpr26_vgpr27
                                        ; implicit-def: $vgpr58_vgpr59
                                        ; implicit-def: $vgpr18_vgpr19
                                        ; implicit-def: $vgpr46_vgpr47
                                        ; implicit-def: $vgpr22_vgpr23
                                        ; implicit-def: $vgpr50_vgpr51
                                        ; implicit-def: $vgpr30_vgpr31
                                        ; implicit-def: $vgpr86_vgpr87
                                        ; implicit-def: $vgpr62_vgpr63
                                        ; implicit-def: $vgpr102_vgpr103
                                        ; implicit-def: $vgpr70_vgpr71
                                        ; implicit-def: $vgpr94_vgpr95
                                        ; implicit-def: $vgpr66_vgpr67
                                        ; implicit-def: $vgpr98_vgpr99
                                        ; implicit-def: $vgpr42_vgpr43
                                        ; implicit-def: $vgpr74_vgpr75
                                        ; implicit-def: $vgpr38_vgpr39
                                        ; implicit-def: $vgpr82_vgpr83
                                        ; implicit-def: $vgpr78_vgpr79
                                        ; implicit-def: $vgpr90_vgpr91
                                        ; implicit-def: $vgpr54_vgpr55
                                        ; implicit-def: $vgpr14_vgpr15
                                        ; implicit-def: $vgpr2_vgpr3
	s_xor_b64 exec, exec, s[2:3]
	s_cbranch_execz .LBB0_13
; %bb.12:
	v_mad_u64_u32 v[0:1], s[0:1], s12, v178, 0
	v_add_u32_e32 v5, 0x2a4, v178
	v_mov_b32_e32 v4, s15
	v_mad_u64_u32 v[1:2], s[0:1], s13, v178, v[1:2]
	v_mad_u64_u32 v[2:3], s[0:1], s12, v5, 0
	v_add_co_u32_e64 v16, s[0:1], s14, v112
	v_lshlrev_b64 v[0:1], 4, v[0:1]
	v_addc_co_u32_e64 v17, s[0:1], v4, v113, s[0:1]
	v_mad_u64_u32 v[3:4], s[0:1], s13, v5, v[3:4]
	v_add_co_u32_e64 v4, s[0:1], v16, v0
	v_addc_co_u32_e64 v5, s[0:1], v17, v1, s[0:1]
	v_mad_u64_u32 v[6:7], s[0:1], s12, v179, 0
	v_lshlrev_b64 v[0:1], 4, v[2:3]
	v_add_u32_e32 v18, 0x2d8, v178
	v_add_co_u32_e64 v12, s[0:1], v16, v0
	v_mov_b32_e32 v0, v7
	v_addc_co_u32_e64 v13, s[0:1], v17, v1, s[0:1]
	v_mad_u64_u32 v[7:8], s[0:1], s13, v179, v[0:1]
	v_mad_u64_u32 v[14:15], s[0:1], s12, v18, 0
	global_load_dwordx4 v[0:3], v[4:5], off
	global_load_dwordx4 v[8:11], v[12:13], off
	v_lshlrev_b64 v[4:5], 4, v[6:7]
	v_mov_b32_e32 v6, v15
	v_mad_u64_u32 v[6:7], s[0:1], s13, v18, v[6:7]
	v_add_co_u32_e64 v18, s[0:1], v16, v4
	v_add_u32_e32 v180, 0x68, v178
	v_addc_co_u32_e64 v19, s[0:1], v17, v5, s[0:1]
	v_mad_u64_u32 v[20:21], s[0:1], s12, v180, 0
	v_mov_b32_e32 v15, v6
	v_lshlrev_b64 v[4:5], 4, v[14:15]
	v_add_u32_e32 v27, 0x30c, v178
	v_add_co_u32_e64 v22, s[0:1], v16, v4
	v_mov_b32_e32 v4, v21
	v_addc_co_u32_e64 v23, s[0:1], v17, v5, s[0:1]
	v_mad_u64_u32 v[24:25], s[0:1], s13, v180, v[4:5]
	v_mad_u64_u32 v[25:26], s[0:1], s12, v27, 0
	v_mov_b32_e32 v21, v24
	global_load_dwordx4 v[4:7], v[18:19], off
	global_load_dwordx4 v[12:15], v[22:23], off
	v_lshlrev_b64 v[18:19], 4, v[20:21]
	v_mov_b32_e32 v20, v26
	v_mad_u64_u32 v[20:21], s[0:1], s13, v27, v[20:21]
	v_add_u32_e32 v181, 0x9c, v178
	v_mad_u64_u32 v[21:22], s[0:1], s12, v181, 0
	v_add_co_u32_e64 v18, s[0:1], v16, v18
	v_mov_b32_e32 v26, v20
	v_mov_b32_e32 v20, v22
	v_addc_co_u32_e64 v19, s[0:1], v17, v19, s[0:1]
	v_lshlrev_b64 v[23:24], 4, v[25:26]
	v_mad_u64_u32 v[25:26], s[0:1], s13, v181, v[20:21]
	v_or_b32_e32 v28, 0x340, v178
	v_mad_u64_u32 v[26:27], s[0:1], s12, v28, 0
	v_mov_b32_e32 v22, v25
	v_add_co_u32_e64 v23, s[0:1], v16, v23
	v_lshlrev_b64 v[20:21], 4, v[21:22]
	v_mov_b32_e32 v22, v27
	v_addc_co_u32_e64 v24, s[0:1], v17, v24, s[0:1]
	v_mad_u64_u32 v[27:28], s[0:1], s13, v28, v[22:23]
	v_add_u32_e32 v182, 0xd0, v178
	v_mad_u64_u32 v[28:29], s[0:1], s12, v182, 0
	v_add_co_u32_e64 v60, s[0:1], v16, v20
	v_mov_b32_e32 v22, v29
	v_addc_co_u32_e64 v61, s[0:1], v17, v21, s[0:1]
	v_lshlrev_b64 v[20:21], 4, v[26:27]
	v_mad_u64_u32 v[25:26], s[0:1], s13, v182, v[22:23]
	v_add_u32_e32 v30, 0x374, v178
	v_mad_u64_u32 v[26:27], s[0:1], s12, v30, 0
	v_add_co_u32_e64 v62, s[0:1], v16, v20
	v_mov_b32_e32 v29, v25
	v_mov_b32_e32 v22, v27
	v_addc_co_u32_e64 v63, s[0:1], v17, v21, s[0:1]
	v_lshlrev_b64 v[20:21], 4, v[28:29]
	v_mad_u64_u32 v[27:28], s[0:1], s13, v30, v[22:23]
	v_add_u32_e32 v183, 0x104, v178
	v_mad_u64_u32 v[28:29], s[0:1], s12, v183, 0
	v_add_co_u32_e64 v64, s[0:1], v16, v20
	v_mov_b32_e32 v22, v29
	v_addc_co_u32_e64 v65, s[0:1], v17, v21, s[0:1]
	v_lshlrev_b64 v[20:21], 4, v[26:27]
	v_mad_u64_u32 v[25:26], s[0:1], s13, v183, v[22:23]
	v_add_u32_e32 v30, 0x3a8, v178
	v_mad_u64_u32 v[26:27], s[0:1], s12, v30, 0
	v_add_co_u32_e64 v66, s[0:1], v16, v20
	v_mov_b32_e32 v29, v25
	v_mov_b32_e32 v22, v27
	v_addc_co_u32_e64 v67, s[0:1], v17, v21, s[0:1]
	v_lshlrev_b64 v[20:21], 4, v[28:29]
	v_mad_u64_u32 v[27:28], s[0:1], s13, v30, v[22:23]
	v_add_u32_e32 v184, 0x138, v178
	v_mad_u64_u32 v[28:29], s[0:1], s12, v184, 0
	v_add_co_u32_e64 v68, s[0:1], v16, v20
	v_mov_b32_e32 v22, v29
	v_addc_co_u32_e64 v69, s[0:1], v17, v21, s[0:1]
	v_lshlrev_b64 v[20:21], 4, v[26:27]
	v_mad_u64_u32 v[25:26], s[0:1], s13, v184, v[22:23]
	v_add_u32_e32 v30, 0x3dc, v178
	v_mad_u64_u32 v[26:27], s[0:1], s12, v30, 0
	v_add_co_u32_e64 v70, s[0:1], v16, v20
	v_mov_b32_e32 v29, v25
	v_mov_b32_e32 v22, v27
	v_addc_co_u32_e64 v71, s[0:1], v17, v21, s[0:1]
	v_lshlrev_b64 v[20:21], 4, v[28:29]
	v_mad_u64_u32 v[27:28], s[0:1], s13, v30, v[22:23]
	v_add_u32_e32 v25, 0x16c, v178
	v_mad_u64_u32 v[28:29], s[0:1], s12, v25, 0
	v_add_co_u32_e64 v84, s[0:1], v16, v20
	v_mov_b32_e32 v22, v29
	v_addc_co_u32_e64 v85, s[0:1], v17, v21, s[0:1]
	v_lshlrev_b64 v[20:21], 4, v[26:27]
	v_mad_u64_u32 v[25:26], s[0:1], s13, v25, v[22:23]
	v_add_u32_e32 v30, 0x410, v178
	v_mad_u64_u32 v[26:27], s[0:1], s12, v30, 0
	v_add_co_u32_e64 v86, s[0:1], v16, v20
	v_mov_b32_e32 v29, v25
	v_mov_b32_e32 v22, v27
	v_addc_co_u32_e64 v87, s[0:1], v17, v21, s[0:1]
	v_lshlrev_b64 v[20:21], 4, v[28:29]
	v_mad_u64_u32 v[27:28], s[0:1], s13, v30, v[22:23]
	v_add_u32_e32 v104, 0x1a0, v178
	v_mad_u64_u32 v[28:29], s[0:1], s12, v104, 0
	v_add_co_u32_e64 v92, s[0:1], v16, v20
	v_mov_b32_e32 v22, v29
	v_addc_co_u32_e64 v93, s[0:1], v17, v21, s[0:1]
	v_lshlrev_b64 v[20:21], 4, v[26:27]
	v_mad_u64_u32 v[25:26], s[0:1], s13, v104, v[22:23]
	v_add_u32_e32 v30, 0x444, v178
	v_mad_u64_u32 v[26:27], s[0:1], s12, v30, 0
	v_add_co_u32_e64 v94, s[0:1], v16, v20
	v_mov_b32_e32 v29, v25
	v_mov_b32_e32 v22, v27
	v_addc_co_u32_e64 v95, s[0:1], v17, v21, s[0:1]
	v_lshlrev_b64 v[20:21], 4, v[28:29]
	v_mad_u64_u32 v[27:28], s[0:1], s13, v30, v[22:23]
	v_add_u32_e32 v25, 0x1d4, v178
	v_mad_u64_u32 v[28:29], s[0:1], s12, v25, 0
	v_add_co_u32_e64 v96, s[0:1], v16, v20
	v_mov_b32_e32 v22, v29
	v_addc_co_u32_e64 v97, s[0:1], v17, v21, s[0:1]
	v_lshlrev_b64 v[20:21], 4, v[26:27]
	v_mad_u64_u32 v[25:26], s[0:1], s13, v25, v[22:23]
	v_add_u32_e32 v30, 0x478, v178
	v_mad_u64_u32 v[26:27], s[0:1], s12, v30, 0
	v_add_co_u32_e64 v98, s[0:1], v16, v20
	v_mov_b32_e32 v29, v25
	v_mov_b32_e32 v22, v27
	v_addc_co_u32_e64 v99, s[0:1], v17, v21, s[0:1]
	v_lshlrev_b64 v[20:21], 4, v[28:29]
	v_mad_u64_u32 v[27:28], s[0:1], s13, v30, v[22:23]
	v_add_u32_e32 v105, 0x208, v178
	v_mad_u64_u32 v[28:29], s[0:1], s12, v105, 0
	v_add_co_u32_e64 v100, s[0:1], v16, v20
	v_mov_b32_e32 v22, v29
	v_addc_co_u32_e64 v101, s[0:1], v17, v21, s[0:1]
	v_lshlrev_b64 v[20:21], 4, v[26:27]
	v_mad_u64_u32 v[25:26], s[0:1], s13, v105, v[22:23]
	v_add_u32_e32 v30, 0x4ac, v178
	v_mad_u64_u32 v[26:27], s[0:1], s12, v30, 0
	v_add_co_u32_e64 v102, s[0:1], v16, v20
	v_mov_b32_e32 v29, v25
	v_mov_b32_e32 v22, v27
	v_addc_co_u32_e64 v103, s[0:1], v17, v21, s[0:1]
	v_lshlrev_b64 v[20:21], 4, v[28:29]
	v_mad_u64_u32 v[27:28], s[0:1], s13, v30, v[22:23]
	v_add_u32_e32 v25, 0x23c, v178
	v_mad_u64_u32 v[28:29], s[0:1], s12, v25, 0
	v_add_co_u32_e64 v107, s[0:1], v16, v20
	v_mov_b32_e32 v22, v29
	v_addc_co_u32_e64 v108, s[0:1], v17, v21, s[0:1]
	v_lshlrev_b64 v[20:21], 4, v[26:27]
	v_mad_u64_u32 v[25:26], s[0:1], s13, v25, v[22:23]
	v_add_u32_e32 v30, 0x4e0, v178
	v_mad_u64_u32 v[26:27], s[0:1], s12, v30, 0
	v_add_co_u32_e64 v109, s[0:1], v16, v20
	v_mov_b32_e32 v29, v25
	v_mov_b32_e32 v22, v27
	v_addc_co_u32_e64 v110, s[0:1], v17, v21, s[0:1]
	v_lshlrev_b64 v[20:21], 4, v[28:29]
	v_mad_u64_u32 v[27:28], s[0:1], s13, v30, v[22:23]
	v_add_u32_e32 v106, 0x270, v178
	v_mad_u64_u32 v[28:29], s[0:1], s12, v106, 0
	v_add_co_u32_e64 v114, s[0:1], v16, v20
	v_mov_b32_e32 v22, v29
	v_addc_co_u32_e64 v115, s[0:1], v17, v21, s[0:1]
	v_lshlrev_b64 v[20:21], 4, v[26:27]
	v_mad_u64_u32 v[25:26], s[0:1], s13, v106, v[22:23]
	v_add_u32_e32 v30, 0x514, v178
	v_mad_u64_u32 v[26:27], s[0:1], s12, v30, 0
	v_add_co_u32_e64 v116, s[0:1], v16, v20
	v_mov_b32_e32 v29, v25
	v_mov_b32_e32 v22, v27
	v_addc_co_u32_e64 v117, s[0:1], v17, v21, s[0:1]
	v_lshlrev_b64 v[20:21], 4, v[28:29]
	v_mad_u64_u32 v[27:28], s[0:1], s13, v30, v[22:23]
	v_add_co_u32_e64 v118, s[0:1], v16, v20
	global_load_dwordx4 v[52:55], v[18:19], off
	global_load_dwordx4 v[32:35], v[23:24], off
	v_lshlrev_b64 v[18:19], 4, v[26:27]
	v_addc_co_u32_e64 v119, s[0:1], v17, v21, s[0:1]
	v_add_co_u32_e64 v120, s[0:1], v16, v18
	v_addc_co_u32_e64 v121, s[0:1], v17, v19, s[0:1]
	global_load_dwordx4 v[24:27], v[60:61], off
	global_load_dwordx4 v[88:91], v[62:63], off
	;; [unrolled: 1-line block ×13, first 2 shown]
                                        ; kill: killed $vgpr84 killed $vgpr85
                                        ; kill: killed $vgpr96 killed $vgpr97
                                        ; kill: killed $vgpr86 killed $vgpr87
                                        ; kill: killed $vgpr68 killed $vgpr69
                                        ; kill: killed $vgpr98 killed $vgpr99
                                        ; kill: killed $vgpr92 killed $vgpr93
                                        ; kill: killed $vgpr70 killed $vgpr71
                                        ; kill: killed $vgpr100 killed $vgpr101
                                        ; kill: killed $vgpr64 killed $vgpr65
                                        ; kill: killed $vgpr94 killed $vgpr95
                                        ; kill: killed $vgpr66 killed $vgpr67
                                        ; kill: killed $vgpr60 killed $vgpr61
                                        ; kill: killed $vgpr62 killed $vgpr63
	s_nop 0
	global_load_dwordx4 v[96:99], v[102:103], off
	global_load_dwordx4 v[64:67], v[107:108], off
	;; [unrolled: 1-line block ×6, first 2 shown]
                                        ; kill: killed $vgpr107 killed $vgpr108
                                        ; kill: killed $vgpr118 killed $vgpr119
                                        ; kill: killed $vgpr109 killed $vgpr110
                                        ; kill: killed $vgpr114 killed $vgpr115
                                        ; kill: killed $vgpr102 killed $vgpr103
                                        ; kill: killed $vgpr116 killed $vgpr117
	global_load_dwordx4 v[100:103], v[120:121], off
	v_mov_b32_e32 v185, v179
.LBB0_13:
	s_or_b64 exec, exec, s[2:3]
	s_waitcnt vmcnt(22)
	v_add_f64 v[12:13], v[4:5], -v[12:13]
	v_add_f64 v[109:110], v[0:1], -v[8:9]
	;; [unrolled: 1-line block ×4, first 2 shown]
	s_waitcnt vmcnt(20)
	v_add_f64 v[120:121], v[52:53], -v[32:33]
	s_waitcnt vmcnt(18)
	v_add_f64 v[8:9], v[24:25], -v[88:89]
	;; [unrolled: 2-line block ×3, first 2 shown]
	v_lshl_add_u32 v134, v178, 4, 0
	v_fma_f64 v[10:11], v[4:5], 2.0, -v[12:13]
	v_add_f64 v[4:5], v[76:77], -v[56:57]
	v_fma_f64 v[107:108], v[0:1], 2.0, -v[109:110]
	v_fma_f64 v[114:115], v[2:3], 2.0, -v[116:117]
	;; [unrolled: 1-line block ×5, first 2 shown]
	v_lshl_add_u32 v135, v185, 4, 0
	ds_write_b128 v134, v[107:110]
	ds_write_b128 v135, v[10:13]
	v_fma_f64 v[2:3], v[76:77], 2.0, -v[4:5]
	v_fma_f64 v[12:13], v[16:17], 2.0, -v[14:15]
	v_lshl_add_u32 v186, v180, 4, 0
	v_lshl_add_u32 v52, v181, 4, 0
	;; [unrolled: 1-line block ×3, first 2 shown]
	ds_write_b128 v186, v[118:121]
	ds_write_b128 v52, v[6:9]
	s_waitcnt vmcnt(12)
	v_add_f64 v[6:7], v[36:37], -v[44:45]
	ds_write_b128 v187, v[2:5]
	s_waitcnt vmcnt(10)
	v_add_f64 v[2:3], v[20:21], -v[72:73]
	v_lshl_add_u32 v76, v183, 4, 0
	s_waitcnt vmcnt(8)
	v_add_f64 v[10:11], v[40:41], -v[48:49]
	ds_write_b128 v76, v[12:15]
	s_waitcnt vmcnt(6)
	v_add_f64 v[14:15], v[28:29], -v[96:97]
	s_waitcnt vmcnt(0)
	v_add_f64 v[128:129], v[68:69], -v[100:101]
	v_fma_f64 v[4:5], v[36:37], 2.0, -v[6:7]
	v_add_f64 v[109:110], v[64:65], -v[84:85]
	v_fma_f64 v[0:1], v[20:21], 2.0, -v[2:3]
	;; [unrolled: 2-line block ×3, first 2 shown]
	v_lshl_add_u32 v195, v184, 4, 0
	v_fma_f64 v[12:13], v[28:29], 2.0, -v[14:15]
	v_fma_f64 v[126:127], v[68:69], 2.0, -v[128:129]
	v_lshl_add_u32 v68, v104, 4, 0
	ds_write_b128 v195, v[4:7]
	ds_write_b128 v134, v[0:3] offset:5824
	ds_write_b128 v68, v[8:11]
	ds_write_b128 v134, v[12:15] offset:7488
	v_add_f64 v[10:11], v[54:55], -v[34:35]
	v_add_f64 v[14:15], v[26:27], -v[90:91]
	v_fma_f64 v[107:108], v[64:65], 2.0, -v[109:110]
	v_fma_f64 v[118:119], v[60:61], 2.0, -v[120:121]
	v_lshlrev_b32_e32 v0, 3, v104
	v_lshl_add_u32 v69, v105, 4, 0
	v_lshl_add_u32 v188, v178, 3, 0
	v_sub_u32_e32 v201, v68, v0
	v_fma_f64 v[8:9], v[54:55], 2.0, -v[10:11]
	v_fma_f64 v[12:13], v[26:27], 2.0, -v[14:15]
	v_lshlrev_b32_e32 v0, 3, v105
	v_lshlrev_b32_e32 v198, 3, v184
	v_lshl_add_u32 v77, v106, 4, 0
	v_sub_u32_e32 v202, v69, v0
	v_lshlrev_b32_e32 v0, 3, v106
	v_lshlrev_b32_e32 v196, 3, v180
	;; [unrolled: 1-line block ×3, first 2 shown]
	v_sub_u32_e32 v204, v195, v198
	v_add_u32_e32 v190, 0x1800, v188
	v_add_u32_e32 v205, 0xc00, v188
	v_add_f64 v[16:17], v[78:79], -v[58:59]
	ds_write_b128 v69, v[107:110]
	ds_write_b128 v134, v[118:121] offset:9152
	ds_write_b128 v77, v[126:129]
	s_waitcnt lgkmcnt(0)
	; wave barrier
	s_waitcnt lgkmcnt(0)
	v_sub_u32_e32 v203, v77, v0
	v_sub_u32_e32 v199, v186, v196
	;; [unrolled: 1-line block ×3, first 2 shown]
	v_add_u32_e32 v189, 0x1000, v188
	v_add_u32_e32 v193, 0x1c00, v188
	;; [unrolled: 1-line block ×3, first 2 shown]
	v_lshl_add_u32 v192, v185, 3, 0
	v_add_u32_e32 v194, 0x800, v188
	ds_read_b64 v[72:73], v204
	ds_read_b64 v[80:81], v201
	;; [unrolled: 1-line block ×7, first 2 shown]
	ds_read_b64 v[84:85], v188 offset:10400
	ds_read2_b64 v[0:3], v188 offset1:156
	ds_read2_b64 v[104:107], v189 offset0:164 offset1:216
	ds_read2_b64 v[126:129], v190 offset0:12 offset1:64
	;; [unrolled: 1-line block ×8, first 2 shown]
	s_waitcnt lgkmcnt(0)
	; wave barrier
	s_waitcnt lgkmcnt(0)
	ds_write_b128 v134, v[114:117]
	ds_write_b128 v135, v[122:125]
	;; [unrolled: 1-line block ×4, first 2 shown]
	v_add_f64 v[10:11], v[18:19], -v[82:83]
	v_add_f64 v[20:21], v[38:39], -v[46:47]
	;; [unrolled: 1-line block ×7, first 2 shown]
	v_fma_f64 v[14:15], v[78:79], 2.0, -v[16:17]
	v_add_f64 v[64:65], v[70:71], -v[102:103]
	v_fma_f64 v[8:9], v[18:19], 2.0, -v[10:11]
	v_fma_f64 v[18:19], v[38:39], 2.0, -v[20:21]
	v_fma_f64 v[38:39], v[22:23], 2.0, -v[40:41]
	v_fma_f64 v[42:43], v[42:43], 2.0, -v[44:45]
	v_fma_f64 v[46:47], v[30:31], 2.0, -v[48:49]
	v_fma_f64 v[50:51], v[66:67], 2.0, -v[52:53]
	v_fma_f64 v[54:55], v[62:63], 2.0, -v[56:57]
	v_and_b32_e32 v206, 1, v178
	v_fma_f64 v[62:63], v[70:71], 2.0, -v[64:65]
	ds_write_b128 v187, v[14:17]
	ds_write_b128 v76, v[8:11]
	;; [unrolled: 1-line block ×3, first 2 shown]
	ds_write_b128 v134, v[38:41] offset:5824
	ds_write_b128 v68, v[42:45]
	ds_write_b128 v134, v[46:49] offset:7488
	ds_write_b128 v69, v[50:53]
	;; [unrolled: 2-line block ×3, first 2 shown]
	v_mul_u32_u24_e32 v8, 12, v206
	v_lshlrev_b32_e32 v14, 4, v8
	s_waitcnt lgkmcnt(0)
	; wave barrier
	s_waitcnt lgkmcnt(0)
	global_load_dwordx4 v[38:41], v14, s[8:9] offset:16
	global_load_dwordx4 v[42:45], v14, s[8:9] offset:32
	;; [unrolled: 1-line block ×8, first 2 shown]
	ds_read_b64 v[22:23], v200
	ds_read_b64 v[54:55], v204
	global_load_dwordx4 v[138:141], v14, s[8:9] offset:144
	global_load_dwordx4 v[8:11], v14, s[8:9]
	ds_read_b64 v[20:21], v199
	global_load_dwordx4 v[16:19], v14, s[8:9] offset:160
	ds_read2_b64 v[68:71], v194 offset0:4 offset1:108
	s_mov_b32 s20, 0x4267c47c
	s_mov_b32 s21, 0xbfddbe06
	;; [unrolled: 1-line block ×36, first 2 shown]
	s_movk_i32 s0, 0x4f
	s_waitcnt vmcnt(10) lgkmcnt(3)
	v_mul_f64 v[12:13], v[22:23], v[40:41]
	v_mul_f64 v[26:27], v[92:93], v[40:41]
	s_waitcnt lgkmcnt(0)
	v_mul_f64 v[30:31], v[68:69], v[40:41]
	v_mul_f64 v[40:41], v[130:131], v[40:41]
	s_waitcnt vmcnt(9)
	v_mul_f64 v[56:57], v[54:55], v[44:45]
	s_waitcnt vmcnt(8)
	v_mul_f64 v[78:79], v[80:81], v[48:49]
	v_fma_f64 v[92:93], v[92:93], v[38:39], v[12:13]
	global_load_dwordx4 v[12:15], v14, s[8:9] offset:176
	v_fma_f64 v[114:115], v[22:23], v[38:39], -v[26:27]
	v_fma_f64 v[64:65], v[130:131], v[38:39], v[30:31]
	v_mul_f64 v[22:23], v[70:71], v[44:45]
	v_mul_f64 v[26:27], v[72:73], v[44:45]
	;; [unrolled: 1-line block ×3, first 2 shown]
	ds_read_b64 v[66:67], v201
	ds_read_b64 v[82:83], v202
	;; [unrolled: 1-line block ×3, first 2 shown]
	v_fma_f64 v[68:69], v[68:69], v[38:39], -v[40:41]
	ds_read2_b64 v[38:41], v205 offset0:84 offset1:188
	s_waitcnt lgkmcnt(3)
	v_mul_f64 v[44:45], v[66:67], v[48:49]
	v_fma_f64 v[94:95], v[72:73], v[42:43], v[56:57]
	v_fma_f64 v[56:57], v[132:133], v[42:43], v[22:23]
	v_fma_f64 v[102:103], v[54:55], v[42:43], -v[26:27]
	v_fma_f64 v[62:63], v[70:71], v[42:43], -v[30:31]
	s_waitcnt lgkmcnt(0)
	v_mul_f64 v[22:23], v[38:39], v[48:49]
	v_mul_f64 v[26:27], v[58:59], v[48:49]
	s_waitcnt vmcnt(8)
	v_mul_f64 v[30:31], v[40:41], v[52:53]
	v_fma_f64 v[100:101], v[66:67], v[46:47], -v[78:79]
	v_mul_f64 v[42:43], v[60:61], v[52:53]
	v_mul_f64 v[48:49], v[82:83], v[52:53]
	;; [unrolled: 1-line block ×3, first 2 shown]
	ds_read2_b64 v[130:133], v189 offset0:164 offset1:216
	v_fma_f64 v[72:73], v[80:81], v[46:47], v[44:45]
	v_fma_f64 v[52:53], v[58:59], v[46:47], v[22:23]
	v_fma_f64 v[54:55], v[38:39], v[46:47], -v[26:27]
	v_fma_f64 v[44:45], v[60:61], v[50:51], v[30:31]
	s_waitcnt vmcnt(7) lgkmcnt(0)
	v_mul_f64 v[22:23], v[132:133], v[76:77]
	v_fma_f64 v[46:47], v[40:41], v[50:51], -v[42:43]
	v_fma_f64 v[78:79], v[36:37], v[50:51], v[48:49]
	s_waitcnt vmcnt(6)
	v_mul_f64 v[30:31], v[130:131], v[118:119]
	v_fma_f64 v[96:97], v[82:83], v[50:51], -v[66:67]
	v_mul_f64 v[38:39], v[86:87], v[118:119]
	ds_read2_b64 v[48:51], v190 offset0:12 offset1:64
	v_mul_f64 v[40:41], v[24:25], v[118:119]
	v_mul_f64 v[42:43], v[106:107], v[76:77]
	;; [unrolled: 1-line block ×4, first 2 shown]
	s_waitcnt lgkmcnt(0)
	v_mul_f64 v[60:61], v[48:49], v[76:77]
	v_fma_f64 v[26:27], v[106:107], v[74:75], v[22:23]
	v_fma_f64 v[36:37], v[104:105], v[116:117], v[30:31]
	;; [unrolled: 1-line block ×3, first 2 shown]
	s_waitcnt vmcnt(5)
	v_mul_f64 v[70:71], v[50:51], v[124:125]
	ds_read2_b64 v[22:25], v190 offset0:116 offset1:168
	v_fma_f64 v[80:81], v[86:87], v[116:117], -v[40:41]
	v_fma_f64 v[40:41], v[130:131], v[116:117], -v[58:59]
	;; [unrolled: 1-line block ×3, first 2 shown]
	v_fma_f64 v[38:39], v[126:127], v[74:75], v[60:61]
	v_mul_f64 v[58:59], v[128:129], v[124:125]
	s_waitcnt lgkmcnt(0)
	v_mul_f64 v[60:61], v[22:23], v[124:125]
	v_mul_f64 v[82:83], v[108:109], v[124:125]
	v_fma_f64 v[42:43], v[48:49], v[74:75], -v[66:67]
	s_waitcnt vmcnt(4)
	v_mul_f64 v[66:67], v[24:25], v[136:137]
	v_fma_f64 v[104:105], v[128:129], v[122:123], v[70:71]
	ds_read2_b64 v[74:77], v193 offset0:92 offset1:144
	v_mul_f64 v[70:71], v[110:111], v[136:137]
	v_fma_f64 v[106:107], v[50:51], v[122:123], -v[58:59]
	v_fma_f64 v[48:49], v[108:109], v[122:123], v[60:61]
	v_fma_f64 v[50:51], v[22:23], v[122:123], -v[82:83]
	s_waitcnt lgkmcnt(0)
	v_mul_f64 v[22:23], v[74:75], v[136:137]
	v_mul_f64 v[60:61], v[88:89], v[136:137]
	v_fma_f64 v[116:117], v[110:111], v[134:135], v[66:67]
	s_waitcnt vmcnt(3)
	v_mul_f64 v[66:67], v[90:91], v[140:141]
	ds_read2_b64 v[122:125], v191 offset0:68 offset1:120
	v_fma_f64 v[110:111], v[24:25], v[134:135], -v[70:71]
	v_mul_f64 v[24:25], v[76:77], v[140:141]
	s_waitcnt vmcnt(1)
	v_mul_f64 v[86:87], v[34:35], v[18:19]
	v_fma_f64 v[58:59], v[88:89], v[134:135], v[22:23]
	s_waitcnt lgkmcnt(0)
	v_mul_f64 v[70:71], v[122:123], v[140:141]
	v_fma_f64 v[60:61], v[74:75], v[134:135], -v[60:61]
	v_mul_f64 v[74:75], v[32:33], v[140:141]
	v_mul_f64 v[82:83], v[124:125], v[18:19]
	v_fma_f64 v[108:109], v[76:77], v[138:139], -v[66:67]
	v_mul_f64 v[76:77], v[120:121], v[10:11]
	v_fma_f64 v[118:119], v[90:91], v[138:139], v[24:25]
	ds_read2_b64 v[22:25], v191 offset0:172 offset1:224
	v_fma_f64 v[66:67], v[32:33], v[138:139], v[70:71]
	v_fma_f64 v[32:33], v[124:125], v[16:17], -v[86:87]
	v_fma_f64 v[70:71], v[122:123], v[138:139], -v[74:75]
	v_fma_f64 v[34:35], v[34:35], v[16:17], v[82:83]
	s_waitcnt lgkmcnt(0)
	v_mul_f64 v[90:91], v[22:23], v[18:19]
	s_waitcnt vmcnt(0)
	v_mul_f64 v[88:89], v[6:7], v[14:15]
	v_mul_f64 v[82:83], v[4:5], v[18:19]
	;; [unrolled: 1-line block ×4, first 2 shown]
	v_fma_f64 v[124:125], v[20:21], v[8:9], -v[76:77]
	v_add_f64 v[166:167], v[114:115], -v[32:33]
	v_add_f64 v[164:165], v[102:103], -v[108:109]
	v_fma_f64 v[76:77], v[4:5], v[16:17], v[90:91]
	v_fma_f64 v[24:25], v[24:25], v[12:13], -v[88:89]
	ds_read_b64 v[88:89], v188 offset:10400
	ds_read_b64 v[74:75], v192
	v_fma_f64 v[82:83], v[22:23], v[16:17], -v[82:83]
	v_fma_f64 v[172:173], v[6:7], v[12:13], v[86:87]
	v_fma_f64 v[16:17], v[120:121], v[8:9], v[122:123]
	s_waitcnt lgkmcnt(1)
	v_mul_f64 v[4:5], v[88:89], v[14:15]
	v_mul_f64 v[14:15], v[84:85], v[14:15]
	ds_read2_b64 v[18:21], v188 offset1:156
	v_add_f64 v[6:7], v[124:125], -v[24:25]
	v_mul_f64 v[140:141], v[164:165], s[4:5]
	v_add_f64 v[162:163], v[100:101], -v[110:111]
	v_add_f64 v[160:161], v[96:97], -v[106:107]
	s_waitcnt lgkmcnt(0)
	v_mul_f64 v[22:23], v[20:21], v[10:11]
	v_mul_f64 v[10:11], v[2:3], v[10:11]
	v_fma_f64 v[86:87], v[84:85], v[12:13], v[4:5]
	v_fma_f64 v[84:85], v[88:89], v[12:13], -v[14:15]
	v_add_f64 v[4:5], v[16:17], v[172:173]
	v_mul_f64 v[12:13], v[6:7], s[20:21]
	v_mul_f64 v[120:121], v[6:7], s[18:19]
	v_add_f64 v[130:131], v[0:1], v[16:17]
	v_fma_f64 v[88:89], v[2:3], v[8:9], v[22:23]
	v_fma_f64 v[90:91], v[20:21], v[8:9], -v[10:11]
	v_mul_f64 v[2:3], v[6:7], s[6:7]
	v_mul_f64 v[10:11], v[6:7], s[4:5]
	;; [unrolled: 1-line block ×3, first 2 shown]
	v_fma_f64 v[8:9], v[4:5], s[26:27], v[12:13]
	v_fma_f64 v[12:13], v[4:5], s[26:27], -v[12:13]
	v_mul_f64 v[6:7], v[6:7], s[30:31]
	v_fma_f64 v[126:127], v[4:5], s[28:29], v[120:121]
	v_fma_f64 v[120:121], v[4:5], s[28:29], -v[120:121]
	v_fma_f64 v[14:15], v[4:5], s[22:23], v[2:3]
	v_fma_f64 v[2:3], v[4:5], s[22:23], -v[2:3]
	;; [unrolled: 2-line block ×5, first 2 shown]
	v_add_f64 v[6:7], v[0:1], v[12:13]
	v_add_f64 v[12:13], v[130:131], v[92:93]
	;; [unrolled: 1-line block ×12, first 2 shown]
	v_add_f64 v[10:11], v[16:17], -v[172:173]
	v_add_f64 v[150:151], v[0:1], v[120:121]
	v_add_f64 v[154:155], v[0:1], v[128:129]
	;; [unrolled: 1-line block ×3, first 2 shown]
	v_mul_f64 v[0:1], v[2:3], s[22:23]
	v_add_f64 v[12:13], v[12:13], v[72:73]
	v_mul_f64 v[14:15], v[2:3], s[26:27]
	v_mul_f64 v[16:17], v[2:3], s[24:25]
	;; [unrolled: 1-line block ×4, first 2 shown]
	v_add_f64 v[158:159], v[80:81], -v[98:99]
	v_mul_f64 v[215:216], v[166:167], s[10:11]
	v_fma_f64 v[122:123], v[10:11], s[36:37], v[0:1]
	v_fma_f64 v[134:135], v[10:11], s[6:7], v[0:1]
	v_add_f64 v[0:1], v[12:13], v[78:79]
	v_fma_f64 v[4:5], v[10:11], s[42:43], v[14:15]
	v_fma_f64 v[120:121], v[10:11], s[20:21], v[14:15]
	v_mul_f64 v[14:15], v[2:3], s[16:17]
	v_add_f64 v[12:13], v[92:93], v[34:35]
	v_mul_f64 v[2:3], v[2:3], s[40:41]
	v_fma_f64 v[128:129], v[10:11], s[38:39], v[16:17]
	v_fma_f64 v[132:133], v[10:11], s[10:11], v[16:17]
	v_add_f64 v[0:1], v[0:1], v[30:31]
	v_add_f64 v[16:17], v[94:95], v[118:119]
	v_fma_f64 v[138:139], v[10:11], s[44:45], v[20:21]
	v_fma_f64 v[136:137], v[10:11], s[34:35], v[14:15]
	;; [unrolled: 1-line block ×3, first 2 shown]
	v_mul_f64 v[14:15], v[166:167], s[6:7]
	v_fma_f64 v[130:131], v[10:11], s[18:19], v[20:21]
	v_add_f64 v[20:21], v[72:73], v[116:117]
	v_add_f64 v[0:1], v[0:1], v[26:27]
	v_fma_f64 v[207:208], v[10:11], s[46:47], v[2:3]
	v_fma_f64 v[209:210], v[10:11], s[30:31], v[2:3]
	;; [unrolled: 1-line block ×3, first 2 shown]
	v_mul_f64 v[221:222], v[166:167], s[30:31]
	v_fma_f64 v[22:23], v[12:13], s[22:23], v[14:15]
	v_mul_f64 v[223:224], v[164:165], s[30:31]
	v_fma_f64 v[211:212], v[20:21], s[24:25], v[142:143]
	v_add_f64 v[144:145], v[0:1], v[104:105]
	v_add_f64 v[0:1], v[18:19], v[4:5]
	v_add_f64 v[4:5], v[18:19], v[122:123]
	v_add_f64 v[122:123], v[18:19], v[134:135]
	v_add_f64 v[2:3], v[18:19], v[124:125]
	v_add_f64 v[8:9], v[22:23], v[8:9]
	v_fma_f64 v[22:23], v[16:17], s[16:17], v[140:141]
	v_add_f64 v[120:121], v[18:19], v[120:121]
	v_add_f64 v[10:11], v[144:145], v[116:117]
	v_mul_f64 v[144:145], v[160:161], s[18:19]
	v_add_f64 v[124:125], v[18:19], v[136:137]
	v_add_f64 v[126:127], v[18:19], v[126:127]
	;; [unrolled: 1-line block ×7, first 2 shown]
	v_mul_f64 v[10:11], v[158:159], s[30:31]
	v_add_f64 v[138:139], v[18:19], v[138:139]
	v_add_f64 v[130:131], v[18:19], v[130:131]
	;; [unrolled: 1-line block ×3, first 2 shown]
	v_fma_f64 v[209:210], v[16:17], s[40:41], v[223:224]
	v_add_f64 v[211:212], v[211:212], v[8:9]
	v_fma_f64 v[213:214], v[22:23], s[28:29], v[144:145]
	v_add_f64 v[8:9], v[30:31], v[26:27]
	v_add_f64 v[217:218], v[134:135], v[34:35]
	v_add_f64 v[134:135], v[18:19], v[207:208]
	v_mul_f64 v[229:230], v[166:167], s[34:35]
	s_waitcnt lgkmcnt(0)
	; wave barrier
	v_mul_f64 v[233:234], v[164:165], s[42:43]
	v_add_f64 v[211:212], v[213:214], v[211:212]
	v_fma_f64 v[213:214], v[8:9], s[40:41], v[10:11]
	v_add_f64 v[18:19], v[217:218], v[172:173]
	v_add_f64 v[172:173], v[219:220], v[176:177]
	v_fma_f64 v[176:177], v[12:13], s[40:41], v[221:222]
	v_lshrrev_b32_e32 v217, 1, v178
	v_mul_u32_u24_e32 v227, 26, v217
	v_mul_f64 v[219:220], v[162:163], s[42:43]
	v_mul_f64 v[225:226], v[160:161], s[34:35]
	v_add_f64 v[207:208], v[213:214], v[211:212]
	v_mul_f64 v[211:212], v[164:165], s[38:39]
	v_mul_f64 v[213:214], v[162:163], s[44:45]
	v_add_f64 v[174:175], v[176:177], v[174:175]
	v_add_f64 v[176:177], v[209:210], v[172:173]
	v_or_b32_e32 v172, v227, v206
	v_mul_f64 v[227:228], v[166:167], s[44:45]
	v_lshl_add_u32 v172, v172, 3, 0
	ds_write2_b64 v172, v[18:19], v[207:208] offset1:2
	v_fma_f64 v[207:208], v[12:13], s[16:17], v[229:230]
	v_fma_f64 v[209:210], v[16:17], s[24:25], v[211:212]
	;; [unrolled: 1-line block ×3, first 2 shown]
	v_mul_f64 v[235:236], v[164:165], s[6:7]
	v_mul_f64 v[237:238], v[162:163], s[4:5]
	v_fma_f64 v[18:19], v[12:13], s[28:29], v[227:228]
	v_mul_f64 v[166:167], v[166:167], s[42:43]
	v_mul_f64 v[231:232], v[160:161], s[6:7]
	;; [unrolled: 1-line block ×3, first 2 shown]
	v_add_f64 v[173:174], v[209:210], v[174:175]
	v_add_f64 v[175:176], v[217:218], v[176:177]
	v_fma_f64 v[209:210], v[20:21], s[26:27], v[219:220]
	v_fma_f64 v[217:218], v[22:23], s[16:17], v[225:226]
	v_add_f64 v[18:19], v[18:19], v[168:169]
	v_add_f64 v[168:169], v[207:208], v[170:171]
	v_fma_f64 v[170:171], v[16:17], s[26:27], v[233:234]
	v_fma_f64 v[207:208], v[16:17], s[22:23], v[235:236]
	v_mul_f64 v[243:244], v[160:161], s[46:47]
	v_fma_f64 v[247:248], v[12:13], s[26:27], v[166:167]
	v_fma_f64 v[166:167], v[12:13], s[26:27], -v[166:167]
	v_mul_f64 v[164:165], v[164:165], s[18:19]
	v_add_f64 v[173:174], v[209:210], v[173:174]
	v_add_f64 v[175:176], v[217:218], v[175:176]
	;; [unrolled: 1-line block ×3, first 2 shown]
	v_fma_f64 v[170:171], v[20:21], s[16:17], v[237:238]
	v_fma_f64 v[209:210], v[22:23], s[22:23], v[231:232]
	v_mul_f64 v[217:218], v[158:159], s[42:43]
	v_add_f64 v[168:169], v[207:208], v[168:169]
	v_fma_f64 v[207:208], v[20:21], s[40:41], v[239:240]
	v_mul_f64 v[245:246], v[160:161], s[42:43]
	v_add_f64 v[154:155], v[247:248], v[154:155]
	v_add_f64 v[156:157], v[166:167], v[156:157]
	;; [unrolled: 1-line block ×3, first 2 shown]
	v_fma_f64 v[170:171], v[22:23], s[40:41], v[243:244]
	v_fma_f64 v[166:167], v[16:17], s[28:29], v[164:165]
	v_fma_f64 v[164:165], v[16:17], s[28:29], -v[164:165]
	v_mul_f64 v[162:163], v[162:163], s[36:37]
	v_add_f64 v[173:174], v[209:210], v[173:174]
	v_fma_f64 v[209:210], v[8:9], s[26:27], v[217:218]
	v_add_f64 v[168:169], v[207:208], v[168:169]
	v_fma_f64 v[207:208], v[22:23], s[26:27], v[245:246]
	v_add_f64 v[18:19], v[170:171], v[18:19]
	v_fma_f64 v[170:171], v[12:13], s[28:29], -v[227:228]
	v_add_f64 v[154:155], v[166:167], v[154:155]
	v_add_f64 v[156:157], v[164:165], v[156:157]
	v_fma_f64 v[164:165], v[20:21], s[22:23], v[162:163]
	v_fma_f64 v[162:163], v[20:21], s[22:23], -v[162:163]
	v_mul_f64 v[160:161], v[160:161], s[10:11]
	v_mul_f64 v[241:242], v[158:159], s[18:19]
	v_add_f64 v[175:176], v[209:210], v[175:176]
	v_add_f64 v[168:169], v[207:208], v[168:169]
	v_mul_f64 v[166:167], v[158:159], s[36:37]
	v_add_f64 v[152:153], v[170:171], v[152:153]
	v_fma_f64 v[207:208], v[16:17], s[26:27], -v[233:234]
	v_mul_f64 v[209:210], v[158:159], s[10:11]
	v_add_f64 v[154:155], v[164:165], v[154:155]
	v_add_f64 v[156:157], v[162:163], v[156:157]
	v_fma_f64 v[162:163], v[22:23], s[24:25], v[160:161]
	v_fma_f64 v[160:161], v[22:23], s[24:25], -v[160:161]
	v_mul_f64 v[158:159], v[158:159], s[34:35]
	v_fma_f64 v[249:250], v[8:9], s[28:29], v[241:242]
	v_fma_f64 v[170:171], v[12:13], s[16:17], -v[229:230]
	v_add_f64 v[152:153], v[207:208], v[152:153]
	v_fma_f64 v[207:208], v[8:9], s[22:23], v[166:167]
	v_fma_f64 v[227:228], v[8:9], s[24:25], v[209:210]
	v_add_f64 v[154:155], v[162:163], v[154:155]
	v_add_f64 v[156:157], v[160:161], v[156:157]
	v_fma_f64 v[160:161], v[8:9], s[16:17], v[158:159]
	v_fma_f64 v[158:159], v[8:9], s[16:17], -v[158:159]
	v_add_f64 v[173:174], v[249:250], v[173:174]
	v_add_f64 v[150:151], v[170:171], v[150:151]
	v_fma_f64 v[164:165], v[16:17], s[22:23], -v[235:236]
	v_fma_f64 v[170:171], v[20:21], s[16:17], -v[237:238]
	v_add_f64 v[18:19], v[207:208], v[18:19]
	v_add_f64 v[168:169], v[227:228], v[168:169]
	;; [unrolled: 1-line block ×4, first 2 shown]
	v_fma_f64 v[162:163], v[20:21], s[40:41], -v[239:240]
	ds_write2_b64 v172, v[175:176], v[173:174] offset0:4 offset1:6
	v_add_f64 v[150:151], v[164:165], v[150:151]
	v_add_f64 v[152:153], v[170:171], v[152:153]
	v_fma_f64 v[164:165], v[22:23], s[40:41], -v[243:244]
	v_fma_f64 v[158:159], v[12:13], s[24:25], -v[215:216]
	ds_write2_b64 v172, v[18:19], v[168:169] offset0:8 offset1:10
	ds_write2_b64 v172, v[154:155], v[156:157] offset0:12 offset1:14
	v_add_f64 v[156:157], v[28:29], v[88:89]
	v_fma_f64 v[160:161], v[22:23], s[26:27], -v[245:246]
	v_fma_f64 v[154:155], v[16:17], s[40:41], -v[223:224]
	v_add_f64 v[150:151], v[162:163], v[150:151]
	v_fma_f64 v[162:163], v[8:9], s[22:23], -v[166:167]
	v_add_f64 v[152:153], v[164:165], v[152:153]
	;; [unrolled: 2-line block ×3, first 2 shown]
	v_add_f64 v[148:149], v[90:91], -v[84:85]
	v_add_f64 v[156:157], v[156:157], v[64:65]
	v_fma_f64 v[158:159], v[16:17], s[24:25], -v[211:212]
	v_add_f64 v[150:151], v[160:161], v[150:151]
	v_add_f64 v[160:161], v[88:89], v[86:87]
	v_add_f64 v[152:153], v[162:163], v[152:153]
	v_add_f64 v[146:147], v[164:165], v[146:147]
	v_add_f64 v[18:19], v[154:155], v[18:19]
	v_mul_f64 v[162:163], v[148:149], s[20:21]
	v_add_f64 v[154:155], v[68:69], -v[82:83]
	v_fma_f64 v[164:165], v[20:21], s[28:29], -v[213:214]
	v_fma_f64 v[12:13], v[12:13], s[22:23], -v[14:15]
	v_add_f64 v[156:157], v[156:157], v[56:57]
	v_fma_f64 v[170:171], v[20:21], s[26:27], -v[219:220]
	v_add_f64 v[146:147], v[158:159], v[146:147]
	v_add_f64 v[158:159], v[64:65], v[76:77]
	v_fma_f64 v[14:15], v[160:161], s[26:27], v[162:163]
	v_mul_f64 v[168:169], v[154:155], s[6:7]
	v_add_f64 v[18:19], v[164:165], v[18:19]
	v_add_f64 v[164:165], v[62:63], -v[70:71]
	v_add_f64 v[6:7], v[12:13], v[6:7]
	v_fma_f64 v[12:13], v[16:17], s[16:17], -v[140:141]
	v_add_f64 v[140:141], v[156:157], v[52:53]
	v_add_f64 v[173:174], v[56:57], v[66:67]
	;; [unrolled: 1-line block ×3, first 2 shown]
	v_fma_f64 v[16:17], v[158:159], s[22:23], v[168:169]
	v_add_f64 v[146:147], v[170:171], v[146:147]
	v_mul_f64 v[175:176], v[164:165], s[4:5]
	v_add_f64 v[156:157], v[54:55], -v[60:61]
	v_fma_f64 v[170:171], v[22:23], s[16:17], -v[225:226]
	v_add_f64 v[6:7], v[12:13], v[6:7]
	v_fma_f64 v[12:13], v[20:21], s[24:25], -v[142:143]
	v_add_f64 v[20:21], v[140:141], v[44:45]
	v_add_f64 v[14:15], v[16:17], v[14:15]
	;; [unrolled: 1-line block ×3, first 2 shown]
	v_fma_f64 v[16:17], v[173:174], s[16:17], v[175:176]
	v_mul_f64 v[207:208], v[156:157], s[10:11]
	v_add_f64 v[18:19], v[170:171], v[18:19]
	v_add_f64 v[140:141], v[46:47], -v[50:51]
	v_fma_f64 v[170:171], v[22:23], s[22:23], -v[231:232]
	v_add_f64 v[20:21], v[20:21], v[36:37]
	v_fma_f64 v[166:167], v[8:9], s[24:25], -v[209:210]
	v_add_f64 v[6:7], v[12:13], v[6:7]
	;; [unrolled: 2-line block ×3, first 2 shown]
	v_fma_f64 v[16:17], v[142:143], s[24:25], v[207:208]
	v_add_f64 v[22:23], v[44:45], v[48:49]
	v_mul_f64 v[209:210], v[140:141], s[18:19]
	v_add_f64 v[144:145], v[170:171], v[146:147]
	v_add_f64 v[146:147], v[40:41], -v[42:43]
	v_add_f64 v[20:21], v[20:21], v[38:39]
	v_fma_f64 v[170:171], v[8:9], s[26:27], -v[217:218]
	v_fma_f64 v[211:212], v[8:9], s[28:29], -v[241:242]
	v_add_f64 v[6:7], v[12:13], v[6:7]
	v_add_f64 v[12:13], v[16:17], v[14:15]
	v_fma_f64 v[14:15], v[22:23], s[28:29], v[209:210]
	v_add_f64 v[16:17], v[36:37], v[38:39]
	v_mul_f64 v[213:214], v[146:147], s[30:31]
	v_fma_f64 v[8:9], v[8:9], s[40:41], -v[10:11]
	v_add_f64 v[10:11], v[20:21], v[48:49]
	v_add_f64 v[20:21], v[166:167], v[150:151]
	v_mul_f64 v[150:151], v[148:149], s[6:7]
	v_add_f64 v[18:19], v[170:171], v[18:19]
	v_add_f64 v[12:13], v[14:15], v[12:13]
	;; [unrolled: 1-line block ×3, first 2 shown]
	v_fma_f64 v[14:15], v[16:17], s[40:41], v[213:214]
	v_add_f64 v[6:7], v[8:9], v[6:7]
	v_add_f64 v[8:9], v[10:11], v[58:59]
	v_mul_f64 v[10:11], v[148:149], s[4:5]
	ds_write2_b64 v172, v[20:21], v[152:153] offset0:16 offset1:18
	v_fma_f64 v[20:21], v[160:161], s[22:23], v[150:151]
	v_mul_f64 v[166:167], v[154:155], s[10:11]
	v_lshrrev_b32_e32 v152, 1, v185
	v_add_f64 v[12:13], v[14:15], v[12:13]
	ds_write_b64 v172, v[6:7] offset:192
	v_add_f64 v[6:7], v[8:9], v[66:67]
	v_fma_f64 v[8:9], v[160:161], s[16:17], v[10:11]
	v_mul_f64 v[14:15], v[154:155], s[30:31]
	ds_write2_b64 v172, v[144:145], v[18:19] offset0:20 offset1:22
	v_add_f64 v[18:19], v[28:29], v[20:21]
	v_fma_f64 v[20:21], v[158:159], s[24:25], v[166:167]
	v_mul_f64 v[144:145], v[164:165], s[30:31]
	v_mul_lo_u32 v177, v152, 26
	v_add_f64 v[6:7], v[6:7], v[76:77]
	v_add_f64 v[8:9], v[28:29], v[8:9]
	v_fma_f64 v[152:153], v[158:159], s[40:41], v[14:15]
	v_mul_f64 v[170:171], v[164:165], s[38:39]
	v_mul_f64 v[211:212], v[156:157], s[44:45]
	v_add_f64 v[18:19], v[20:21], v[18:19]
	v_fma_f64 v[20:21], v[173:174], s[40:41], v[144:145]
	v_mul_f64 v[215:216], v[148:149], s[10:11]
	v_add_f64 v[6:7], v[6:7], v[86:87]
	v_or_b32_e32 v177, v177, v206
	v_add_f64 v[8:9], v[152:153], v[8:9]
	v_fma_f64 v[217:218], v[173:174], s[24:25], v[170:171]
	v_lshl_add_u32 v152, v177, 3, 0
	v_mul_f64 v[221:222], v[154:155], s[44:45]
	v_add_f64 v[18:19], v[20:21], v[18:19]
	v_fma_f64 v[20:21], v[142:143], s[28:29], v[211:212]
	v_fma_f64 v[219:220], v[160:161], s[24:25], v[215:216]
	ds_write2_b64 v152, v[6:7], v[12:13] offset1:2
	v_mul_f64 v[12:13], v[140:141], s[34:35]
	v_add_f64 v[6:7], v[217:218], v[8:9]
	v_mul_f64 v[8:9], v[156:157], s[42:43]
	v_fma_f64 v[217:218], v[158:159], s[28:29], v[221:222]
	v_mul_f64 v[227:228], v[164:165], s[42:43]
	v_add_f64 v[18:19], v[20:21], v[18:19]
	v_add_f64 v[20:21], v[28:29], v[219:220]
	v_mul_f64 v[233:234], v[140:141], s[6:7]
	v_mul_f64 v[223:224], v[148:149], s[18:19]
	v_fma_f64 v[231:232], v[22:23], s[16:17], v[12:13]
	v_fma_f64 v[229:230], v[142:143], s[26:27], v[8:9]
	v_mul_f64 v[235:236], v[146:147], s[42:43]
	v_fma_f64 v[237:238], v[173:174], s[26:27], v[227:228]
	v_mul_f64 v[241:242], v[156:157], s[4:5]
	v_add_f64 v[20:21], v[217:218], v[20:21]
	v_mul_f64 v[225:226], v[154:155], s[34:35]
	v_fma_f64 v[219:220], v[160:161], s[28:29], v[223:224]
	v_add_f64 v[18:19], v[231:232], v[18:19]
	v_add_f64 v[6:7], v[229:230], v[6:7]
	v_fma_f64 v[229:230], v[22:23], s[22:23], v[233:234]
	v_fma_f64 v[231:232], v[16:17], s[26:27], v[235:236]
	v_mul_f64 v[245:246], v[140:141], s[46:47]
	v_add_f64 v[20:21], v[237:238], v[20:21]
	v_fma_f64 v[237:238], v[142:143], s[16:17], v[241:242]
	v_mul_f64 v[148:149], v[148:149], s[30:31]
	v_add_f64 v[217:218], v[28:29], v[219:220]
	v_fma_f64 v[219:220], v[158:159], s[16:17], v[225:226]
	v_add_f64 v[6:7], v[229:230], v[6:7]
	v_mul_f64 v[229:230], v[146:147], s[18:19]
	v_mul_f64 v[239:240], v[164:165], s[6:7]
	v_add_f64 v[18:19], v[231:232], v[18:19]
	v_add_f64 v[20:21], v[237:238], v[20:21]
	v_fma_f64 v[231:232], v[22:23], s[40:41], v[245:246]
	v_mul_f64 v[247:248], v[146:147], s[36:37]
	v_fma_f64 v[251:252], v[160:161], s[40:41], v[148:149]
	v_mul_f64 v[153:154], v[154:155], s[42:43]
	v_fma_f64 v[249:250], v[16:17], s[28:29], v[229:230]
	v_fma_f64 v[148:149], v[160:161], s[40:41], -v[148:149]
	v_add_f64 v[217:218], v[219:220], v[217:218]
	v_fma_f64 v[219:220], v[173:174], s[22:23], v[239:240]
	v_mul_f64 v[243:244], v[156:157], s[46:47]
	v_add_f64 v[20:21], v[231:232], v[20:21]
	v_fma_f64 v[231:232], v[16:17], s[22:23], v[247:248]
	v_mul_f64 v[164:165], v[164:165], s[18:19]
	v_add_f64 v[6:7], v[249:250], v[6:7]
	v_add_f64 v[249:250], v[28:29], v[251:252]
	v_fma_f64 v[251:252], v[158:159], s[26:27], v[153:154]
	v_add_f64 v[148:149], v[28:29], v[148:149]
	v_fma_f64 v[153:154], v[158:159], s[26:27], -v[153:154]
	v_add_f64 v[217:218], v[219:220], v[217:218]
	v_fma_f64 v[219:220], v[142:143], s[40:41], v[243:244]
	v_mul_f64 v[237:238], v[140:141], s[42:43]
	v_add_f64 v[20:21], v[231:232], v[20:21]
	v_mul_f64 v[155:156], v[156:157], s[36:37]
	v_add_f64 v[231:232], v[251:252], v[249:250]
	;; [unrolled: 2-line block ×3, first 2 shown]
	v_fma_f64 v[153:154], v[173:174], s[28:29], v[164:165]
	v_fma_f64 v[164:165], v[173:174], s[28:29], -v[164:165]
	v_add_f64 v[217:218], v[219:220], v[217:218]
	v_fma_f64 v[219:220], v[22:23], s[26:27], v[237:238]
	v_fma_f64 v[150:151], v[160:161], s[22:23], -v[150:151]
	v_fma_f64 v[10:11], v[160:161], s[16:17], -v[10:11]
	;; [unrolled: 1-line block ×4, first 2 shown]
	v_add_f64 v[153:154], v[153:154], v[231:232]
	v_add_f64 v[148:149], v[164:165], v[148:149]
	v_fma_f64 v[164:165], v[142:143], s[22:23], v[155:156]
	v_fma_f64 v[155:156], v[142:143], s[22:23], -v[155:156]
	v_add_f64 v[217:218], v[219:220], v[217:218]
	v_mul_f64 v[219:220], v[146:147], s[10:11]
	v_mul_f64 v[146:147], v[146:147], s[34:35]
	v_add_f64 v[2:3], v[2:3], v[114:115]
	v_add_f64 v[150:151], v[28:29], v[150:151]
	v_fma_f64 v[166:167], v[158:159], s[24:25], -v[166:167]
	v_add_f64 v[153:154], v[164:165], v[153:154]
	v_add_f64 v[148:149], v[155:156], v[148:149]
	v_fma_f64 v[155:156], v[22:23], s[24:25], v[140:141]
	v_fma_f64 v[140:141], v[22:23], s[24:25], -v[140:141]
	v_add_f64 v[10:11], v[28:29], v[10:11]
	v_fma_f64 v[14:15], v[158:159], s[40:41], -v[14:15]
	v_add_f64 v[215:216], v[28:29], v[215:216]
	;; [unrolled: 2-line block ×4, first 2 shown]
	v_add_f64 v[140:141], v[140:141], v[148:149]
	v_fma_f64 v[148:149], v[16:17], s[16:17], v[146:147]
	v_fma_f64 v[146:147], v[16:17], s[16:17], -v[146:147]
	v_add_f64 v[2:3], v[2:3], v[102:103]
	v_fma_f64 v[144:145], v[173:174], s[40:41], -v[144:145]
	v_add_f64 v[10:11], v[14:15], v[10:11]
	;; [unrolled: 2-line block ×3, first 2 shown]
	v_add_f64 v[221:222], v[225:226], v[223:224]
	v_add_f64 v[148:149], v[148:149], v[153:154]
	;; [unrolled: 1-line block ×4, first 2 shown]
	v_fma_f64 v[146:147], v[160:161], s[26:27], -v[162:163]
	v_add_f64 v[160:161], v[114:115], v[32:33]
	v_fma_f64 v[223:224], v[173:174], s[26:27], -v[227:228]
	v_fma_f64 v[225:226], v[173:174], s[22:23], -v[239:240]
	v_add_f64 v[2:3], v[2:3], v[100:101]
	v_add_f64 v[92:93], v[92:93], -v[34:35]
	v_add_f64 v[10:11], v[14:15], v[10:11]
	v_add_f64 v[114:115], v[144:145], v[140:141]
	;; [unrolled: 1-line block ×3, first 2 shown]
	v_fma_f64 v[144:145], v[158:159], s[22:23], -v[168:169]
	v_mul_f64 v[140:141], v[160:161], s[22:23]
	v_add_f64 v[157:158], v[102:103], v[108:109]
	v_fma_f64 v[14:15], v[142:143], s[28:29], -v[211:212]
	v_fma_f64 v[8:9], v[142:143], s[26:27], -v[8:9]
	v_add_f64 v[164:165], v[223:224], v[215:216]
	v_add_f64 v[215:216], v[225:226], v[221:222]
	v_fma_f64 v[221:222], v[142:143], s[16:17], -v[241:242]
	v_fma_f64 v[223:224], v[142:143], s[40:41], -v[243:244]
	v_add_f64 v[2:3], v[2:3], v[96:97]
	v_add_f64 v[28:29], v[144:145], v[28:29]
	v_fma_f64 v[34:35], v[173:174], s[16:17], -v[175:176]
	v_fma_f64 v[144:145], v[92:93], s[36:37], v[140:141]
	v_add_f64 v[102:103], v[94:95], -v[118:119]
	v_mul_f64 v[118:119], v[157:158], s[16:17]
	v_add_f64 v[166:167], v[100:101], v[110:111]
	v_add_f64 v[14:15], v[14:15], v[114:115]
	;; [unrolled: 1-line block ×3, first 2 shown]
	v_fma_f64 v[10:11], v[22:23], s[16:17], -v[12:13]
	v_add_f64 v[155:156], v[221:222], v[164:165]
	v_add_f64 v[164:165], v[223:224], v[215:216]
	v_fma_f64 v[215:216], v[22:23], s[40:41], -v[245:246]
	v_fma_f64 v[221:222], v[22:23], s[26:27], -v[237:238]
	v_add_f64 v[2:3], v[2:3], v[80:81]
	v_add_f64 v[0:1], v[144:145], v[0:1]
	;; [unrolled: 1-line block ×3, first 2 shown]
	v_fma_f64 v[28:29], v[102:103], s[34:35], v[118:119]
	v_add_f64 v[114:115], v[72:73], -v[116:117]
	v_mul_f64 v[116:117], v[166:167], s[24:25]
	v_fma_f64 v[34:35], v[142:143], s[24:25], -v[207:208]
	v_add_f64 v[10:11], v[10:11], v[14:15]
	v_fma_f64 v[14:15], v[22:23], s[22:23], -v[233:234]
	v_fma_f64 v[249:250], v[16:17], s[24:25], v[219:220]
	v_add_f64 v[155:156], v[215:216], v[155:156]
	v_add_f64 v[164:165], v[221:222], v[164:165]
	v_fma_f64 v[150:151], v[16:17], s[22:23], -v[247:248]
	v_fma_f64 v[162:163], v[16:17], s[24:25], -v[219:220]
	v_add_f64 v[2:3], v[2:3], v[98:99]
	v_add_f64 v[0:1], v[28:29], v[0:1]
	v_fma_f64 v[28:29], v[114:115], s[38:39], v[116:117]
	v_add_f64 v[12:13], v[34:35], v[12:13]
	v_add_f64 v[8:9], v[14:15], v[8:9]
	v_fma_f64 v[14:15], v[16:17], s[26:27], -v[235:236]
	v_fma_f64 v[34:35], v[16:17], s[28:29], -v[229:230]
	v_add_f64 v[217:218], v[249:250], v[217:218]
	v_add_f64 v[2:3], v[2:3], v[106:107]
	;; [unrolled: 1-line block ×4, first 2 shown]
	v_add_f64 v[106:107], v[30:31], -v[26:27]
	v_add_f64 v[26:27], v[150:151], v[155:156]
	v_add_f64 v[28:29], v[162:163], v[164:165]
	;; [unrolled: 1-line block ×4, first 2 shown]
	ds_write2_b64 v152, v[18:19], v[6:7] offset0:4 offset1:6
	ds_write2_b64 v152, v[20:21], v[217:218] offset0:8 offset1:10
	;; [unrolled: 1-line block ×5, first 2 shown]
	v_mul_f64 v[153:154], v[160:161], s[24:25]
	v_mul_f64 v[155:156], v[160:161], s[40:41]
	;; [unrolled: 1-line block ×6, first 2 shown]
	v_fma_f64 v[22:23], v[22:23], s[28:29], -v[209:210]
	v_add_f64 v[96:97], v[78:79], -v[104:105]
	v_fma_f64 v[6:7], v[92:93], s[38:39], v[153:154]
	v_fma_f64 v[28:29], v[92:93], s[46:47], v[155:156]
	;; [unrolled: 1-line block ×4, first 2 shown]
	v_add_f64 v[146:147], v[80:81], v[98:99]
	v_fma_f64 v[16:17], v[16:17], s[40:41], -v[213:214]
	v_fma_f64 v[206:207], v[114:115], s[18:19], v[170:171]
	v_mul_f64 v[208:209], v[144:145], s[16:17]
	v_add_f64 v[30:31], v[6:7], v[4:5]
	v_add_f64 v[124:125], v[28:29], v[124:125]
	v_mul_f64 v[210:211], v[160:161], s[28:29]
	v_mul_f64 v[212:213], v[160:161], s[16:17]
	;; [unrolled: 1-line block ×6, first 2 shown]
	v_add_f64 v[168:169], v[168:169], v[30:31]
	v_add_f64 v[124:125], v[173:174], v[124:125]
	v_fma_f64 v[173:174], v[114:115], s[20:21], v[175:176]
	v_fma_f64 v[218:219], v[92:93], s[4:5], v[212:213]
	;; [unrolled: 1-line block ×3, first 2 shown]
	v_add_f64 v[2:3], v[2:3], v[110:111]
	v_mul_f64 v[110:111], v[144:145], s[28:29]
	v_mul_f64 v[222:223], v[157:158], s[22:23]
	v_add_f64 v[168:169], v[206:207], v[168:169]
	v_fma_f64 v[206:207], v[96:97], s[4:5], v[208:209]
	v_add_f64 v[124:125], v[173:174], v[124:125]
	v_fma_f64 v[173:174], v[92:93], s[18:19], v[210:211]
	v_add_f64 v[138:139], v[218:219], v[138:139]
	v_mul_f64 v[218:219], v[166:167], s[16:17]
	v_mul_f64 v[226:227], v[146:147], s[28:29]
	;; [unrolled: 1-line block ×3, first 2 shown]
	v_add_f64 v[2:3], v[2:3], v[108:109]
	v_add_f64 v[168:169], v[206:207], v[168:169]
	v_fma_f64 v[206:207], v[96:97], s[36:37], v[214:215]
	v_add_f64 v[136:137], v[173:174], v[136:137]
	v_fma_f64 v[173:174], v[102:103], s[20:21], v[220:221]
	;; [unrolled: 2-line block ×3, first 2 shown]
	v_mul_f64 v[142:143], v[146:147], s[40:41]
	v_fma_f64 v[228:229], v[102:103], s[36:37], v[222:223]
	v_add_f64 v[168:169], v[224:225], v[168:169]
	v_fma_f64 v[224:225], v[92:93], s[20:21], v[159:160]
	v_add_f64 v[124:125], v[206:207], v[124:125]
	v_add_f64 v[136:137], v[173:174], v[136:137]
	v_fma_f64 v[173:174], v[114:115], s[34:35], v[218:219]
	v_mul_f64 v[206:207], v[166:167], s[40:41]
	v_fma_f64 v[230:231], v[106:107], s[44:45], v[226:227]
	v_fma_f64 v[159:160], v[92:93], s[42:43], v[159:160]
	v_mul_f64 v[166:167], v[166:167], s[22:23]
	v_add_f64 v[134:135], v[224:225], v[134:135]
	v_add_f64 v[2:3], v[2:3], v[32:33]
	;; [unrolled: 1-line block ×4, first 2 shown]
	v_fma_f64 v[173:174], v[102:103], s[44:45], v[157:158]
	v_fma_f64 v[14:15], v[106:107], s[46:47], v[142:143]
	v_add_f64 v[138:139], v[228:229], v[138:139]
	v_fma_f64 v[228:229], v[114:115], s[30:31], v[206:207]
	v_add_f64 v[124:125], v[230:231], v[124:125]
	v_mul_f64 v[230:231], v[144:145], s[40:41]
	v_mul_f64 v[232:233], v[144:145], s[26:27]
	v_add_f64 v[132:133], v[159:160], v[132:133]
	v_add_f64 v[134:135], v[173:174], v[134:135]
	v_fma_f64 v[157:158], v[102:103], s[18:19], v[157:158]
	v_fma_f64 v[159:160], v[114:115], s[6:7], v[166:167]
	v_add_f64 v[173:174], v[74:75], v[90:91]
	v_add_f64 v[12:13], v[16:17], v[12:13]
	;; [unrolled: 1-line block ×5, first 2 shown]
	v_fma_f64 v[224:225], v[96:97], s[30:31], v[230:231]
	v_fma_f64 v[228:229], v[96:97], s[20:21], v[232:233]
	v_mul_f64 v[234:235], v[146:147], s[22:23]
	v_mul_f64 v[236:237], v[146:147], s[24:25]
	v_add_f64 v[132:133], v[157:158], v[132:133]
	v_add_f64 v[134:135], v[159:160], v[134:135]
	v_fma_f64 v[157:158], v[114:115], s[36:37], v[166:167]
	v_add_f64 v[159:160], v[173:174], v[68:69]
	ds_write_b64 v152, v[12:13] offset:192
	s_waitcnt lgkmcnt(0)
	; wave barrier
	s_waitcnt lgkmcnt(0)
	ds_read_b64 v[100:101], v204
	ds_read_b64 v[98:99], v201
	;; [unrolled: 1-line block ×7, first 2 shown]
	ds_read_b64 v[78:79], v188 offset:10400
	ds_read2_b64 v[0:3], v188 offset1:156
	ds_read2_b64 v[24:27], v189 offset0:164 offset1:216
	ds_read2_b64 v[20:23], v190 offset0:12 offset1:64
	;; [unrolled: 1-line block ×8, first 2 shown]
	s_waitcnt lgkmcnt(0)
	; wave barrier
	s_waitcnt lgkmcnt(0)
	v_add_f64 v[136:137], v[224:225], v[136:137]
	v_fma_f64 v[224:225], v[106:107], s[6:7], v[234:235]
	v_add_f64 v[138:139], v[228:229], v[138:139]
	v_fma_f64 v[228:229], v[106:107], s[38:39], v[236:237]
	ds_write2_b64 v172, v[148:149], v[150:151] offset1:2
	ds_write2_b64 v172, v[168:169], v[124:125] offset0:4 offset1:6
	v_add_f64 v[124:125], v[157:158], v[132:133]
	v_add_f64 v[132:133], v[159:160], v[62:63]
	v_fma_f64 v[150:151], v[92:93], s[44:45], v[210:211]
	v_fma_f64 v[118:119], v[102:103], s[4:5], v[118:119]
	v_add_f64 v[136:137], v[224:225], v[136:137]
	v_mul_f64 v[144:145], v[144:145], s[24:25]
	v_add_f64 v[138:139], v[228:229], v[138:139]
	v_fma_f64 v[116:117], v[114:115], s[10:11], v[116:117]
	v_mul_f64 v[146:147], v[146:147], s[16:17]
	v_add_f64 v[132:133], v[132:133], v[54:55]
	v_add_f64 v[128:129], v[150:151], v[128:129]
	v_fma_f64 v[110:111], v[96:97], s[18:19], v[110:111]
	v_add_f64 v[90:91], v[90:91], v[84:85]
	v_fma_f64 v[166:167], v[96:97], s[38:39], v[144:145]
	ds_write2_b64 v172, v[136:137], v[138:139] offset0:8 offset1:10
	v_fma_f64 v[136:137], v[92:93], s[6:7], v[140:141]
	v_fma_f64 v[138:139], v[92:93], s[10:11], v[153:154]
	;; [unrolled: 1-line block ×4, first 2 shown]
	v_add_f64 v[132:133], v[132:133], v[46:47]
	v_fma_f64 v[144:145], v[96:97], s[10:11], v[144:145]
	v_add_f64 v[134:135], v[166:167], v[134:135]
	v_fma_f64 v[148:149], v[106:107], s[4:5], v[146:147]
	v_add_f64 v[120:121], v[136:137], v[120:121]
	v_add_f64 v[122:123], v[138:139], v[122:123]
	;; [unrolled: 1-line block ×5, first 2 shown]
	v_fma_f64 v[136:137], v[102:103], s[30:31], v[162:163]
	v_fma_f64 v[138:139], v[102:103], s[38:39], v[164:165]
	;; [unrolled: 1-line block ×4, first 2 shown]
	v_add_f64 v[118:119], v[118:119], v[120:121]
	v_fma_f64 v[132:133], v[114:115], s[42:43], v[175:176]
	v_add_f64 v[124:125], v[144:145], v[124:125]
	v_add_f64 v[130:131], v[130:131], v[42:43]
	;; [unrolled: 1-line block ×5, first 2 shown]
	v_fma_f64 v[128:129], v[114:115], s[44:45], v[170:171]
	v_fma_f64 v[136:137], v[114:115], s[4:5], v[218:219]
	v_add_f64 v[92:93], v[102:103], v[92:93]
	v_fma_f64 v[102:103], v[114:115], s[46:47], v[206:207]
	v_add_f64 v[114:115], v[116:117], v[118:119]
	v_add_f64 v[118:119], v[130:131], v[50:51]
	v_fma_f64 v[144:145], v[106:107], s[34:35], v[146:147]
	v_add_f64 v[134:135], v[148:149], v[134:135]
	v_add_f64 v[116:117], v[128:129], v[120:121]
	;; [unrolled: 1-line block ×5, first 2 shown]
	v_fma_f64 v[126:127], v[96:97], s[34:35], v[208:209]
	v_add_f64 v[102:103], v[118:119], v[60:61]
	v_add_f64 v[124:125], v[144:145], v[124:125]
	v_fma_f64 v[128:129], v[96:97], s[6:7], v[214:215]
	v_fma_f64 v[130:131], v[96:97], s[46:47], v[230:231]
	;; [unrolled: 1-line block ×3, first 2 shown]
	v_add_f64 v[110:111], v[110:111], v[114:115]
	v_add_f64 v[86:87], v[88:89], -v[86:87]
	v_add_f64 v[114:115], v[126:127], v[116:117]
	v_add_f64 v[102:103], v[102:103], v[70:71]
	ds_write2_b64 v172, v[134:135], v[124:125] offset0:12 offset1:14
	v_add_f64 v[116:117], v[128:129], v[120:121]
	v_add_f64 v[118:119], v[130:131], v[122:123]
	v_fma_f64 v[120:121], v[106:107], s[30:31], v[142:143]
	v_add_f64 v[92:93], v[96:97], v[92:93]
	v_fma_f64 v[96:97], v[106:107], s[42:43], v[216:217]
	v_fma_f64 v[122:123], v[106:107], s[18:19], v[226:227]
	;; [unrolled: 1-line block ×4, first 2 shown]
	v_add_f64 v[102:103], v[102:103], v[82:83]
	v_mul_f64 v[88:89], v[90:91], s[26:27]
	v_add_f64 v[68:69], v[68:69], v[82:83]
	v_add_f64 v[110:111], v[120:121], v[110:111]
	;; [unrolled: 1-line block ×6, first 2 shown]
	v_mul_f64 v[106:107], v[90:91], s[22:23]
	v_add_f64 v[84:85], v[102:103], v[84:85]
	v_mul_f64 v[102:103], v[90:91], s[16:17]
	v_fma_f64 v[118:119], v[86:87], s[42:43], v[88:89]
	v_mul_f64 v[120:121], v[90:91], s[24:25]
	v_fma_f64 v[88:89], v[86:87], s[20:21], v[88:89]
	v_mul_f64 v[122:123], v[90:91], s[28:29]
	v_mul_f64 v[90:91], v[90:91], s[40:41]
	v_fma_f64 v[124:125], v[86:87], s[36:37], v[106:107]
	v_add_f64 v[64:65], v[64:65], -v[76:77]
	v_fma_f64 v[126:127], v[86:87], s[34:35], v[102:103]
	v_mul_f64 v[76:77], v[68:69], s[22:23]
	v_fma_f64 v[106:107], v[86:87], s[6:7], v[106:107]
	v_fma_f64 v[102:103], v[86:87], s[4:5], v[102:103]
	;; [unrolled: 1-line block ×8, first 2 shown]
	v_add_f64 v[90:91], v[74:75], v[118:119]
	v_add_f64 v[88:89], v[74:75], v[88:89]
	;; [unrolled: 1-line block ×4, first 2 shown]
	v_mul_f64 v[126:127], v[68:69], s[24:25]
	v_mul_f64 v[132:133], v[68:69], s[40:41]
	v_fma_f64 v[134:135], v[64:65], s[36:37], v[76:77]
	v_fma_f64 v[76:77], v[64:65], s[6:7], v[76:77]
	v_add_f64 v[106:107], v[74:75], v[106:107]
	v_add_f64 v[102:103], v[74:75], v[102:103]
	;; [unrolled: 1-line block ×6, first 2 shown]
	v_fma_f64 v[136:137], v[64:65], s[38:39], v[126:127]
	v_add_f64 v[82:83], v[74:75], v[82:83]
	v_fma_f64 v[126:127], v[64:65], s[10:11], v[126:127]
	v_add_f64 v[74:75], v[74:75], v[86:87]
	;; [unrolled: 2-line block ×3, first 2 shown]
	v_add_f64 v[76:77], v[76:77], v[88:89]
	v_mul_f64 v[88:89], v[68:69], s[28:29]
	v_mul_f64 v[134:135], v[68:69], s[16:17]
	v_add_f64 v[62:63], v[62:63], v[70:71]
	v_add_f64 v[106:107], v[126:127], v[106:107]
	v_mul_f64 v[68:69], v[68:69], s[26:27]
	v_add_f64 v[86:87], v[86:87], v[124:125]
	v_fma_f64 v[70:71], v[64:65], s[30:31], v[132:133]
	v_add_f64 v[56:57], v[56:57], -v[66:67]
	v_fma_f64 v[124:125], v[64:65], s[18:19], v[88:89]
	v_fma_f64 v[88:89], v[64:65], s[44:45], v[88:89]
	;; [unrolled: 1-line block ×3, first 2 shown]
	v_mul_f64 v[66:67], v[62:63], s[16:17]
	v_fma_f64 v[132:133], v[64:65], s[34:35], v[134:135]
	v_fma_f64 v[134:135], v[64:65], s[20:21], v[68:69]
	;; [unrolled: 1-line block ×3, first 2 shown]
	v_add_f64 v[68:69], v[70:71], v[102:103]
	v_mul_f64 v[70:71], v[62:63], s[40:41]
	v_add_f64 v[102:103], v[124:125], v[128:129]
	v_add_f64 v[88:89], v[88:89], v[120:121]
	v_add_f64 v[120:121], v[126:127], v[130:131]
	v_mul_f64 v[124:125], v[62:63], s[24:25]
	v_fma_f64 v[126:127], v[56:57], s[34:35], v[66:67]
	v_fma_f64 v[66:67], v[56:57], s[4:5], v[66:67]
	v_add_f64 v[64:65], v[64:65], v[74:75]
	v_fma_f64 v[128:129], v[56:57], s[46:47], v[70:71]
	v_fma_f64 v[70:71], v[56:57], s[30:31], v[70:71]
	v_add_f64 v[54:55], v[54:55], v[60:61]
	v_add_f64 v[118:119], v[136:137], v[118:119]
	v_fma_f64 v[74:75], v[56:57], s[10:11], v[124:125]
	v_add_f64 v[90:91], v[126:127], v[90:91]
	v_add_f64 v[66:67], v[66:67], v[76:77]
	v_mul_f64 v[76:77], v[62:63], s[26:27]
	v_mul_f64 v[126:127], v[62:63], s[22:23]
	;; [unrolled: 1-line block ×3, first 2 shown]
	v_add_f64 v[70:71], v[70:71], v[106:107]
	v_fma_f64 v[60:61], v[56:57], s[38:39], v[124:125]
	v_add_f64 v[74:75], v[74:75], v[86:87]
	v_add_f64 v[52:53], v[52:53], -v[58:59]
	v_mul_f64 v[58:59], v[54:55], s[24:25]
	v_fma_f64 v[86:87], v[56:57], s[20:21], v[76:77]
	v_fma_f64 v[76:77], v[56:57], s[42:43], v[76:77]
	;; [unrolled: 1-line block ×6, first 2 shown]
	v_mul_f64 v[62:63], v[54:55], s[28:29]
	v_add_f64 v[118:119], v[128:129], v[118:119]
	v_add_f64 v[60:61], v[60:61], v[68:69]
	;; [unrolled: 1-line block ×5, first 2 shown]
	v_mul_f64 v[88:89], v[54:55], s[26:27]
	v_fma_f64 v[102:103], v[52:53], s[38:39], v[58:59]
	v_fma_f64 v[58:59], v[52:53], s[10:11], v[58:59]
	;; [unrolled: 1-line block ×4, first 2 shown]
	v_add_f64 v[56:57], v[56:57], v[64:65]
	v_add_f64 v[46:47], v[46:47], v[50:51]
	;; [unrolled: 1-line block ×3, first 2 shown]
	v_fma_f64 v[64:65], v[52:53], s[20:21], v[88:89]
	v_add_f64 v[90:91], v[102:103], v[90:91]
	v_add_f64 v[58:59], v[58:59], v[66:67]
	v_mul_f64 v[66:67], v[54:55], s[16:17]
	v_add_f64 v[102:103], v[120:121], v[118:119]
	v_mul_f64 v[118:119], v[54:55], s[40:41]
	v_mul_f64 v[54:55], v[54:55], s[22:23]
	v_add_f64 v[62:63], v[62:63], v[70:71]
	v_add_f64 v[64:65], v[64:65], v[74:75]
	v_fma_f64 v[50:51], v[52:53], s[42:43], v[88:89]
	v_add_f64 v[44:45], v[44:45], -v[48:49]
	v_fma_f64 v[70:71], v[52:53], s[34:35], v[66:67]
	v_mul_f64 v[48:49], v[46:47], s[28:29]
	v_fma_f64 v[74:75], v[52:53], s[30:31], v[118:119]
	v_fma_f64 v[66:67], v[52:53], s[4:5], v[66:67]
	;; [unrolled: 1-line block ×5, first 2 shown]
	v_mul_f64 v[54:55], v[46:47], s[16:17]
	v_add_f64 v[106:107], v[124:125], v[122:123]
	v_add_f64 v[50:51], v[50:51], v[60:61]
	;; [unrolled: 1-line block ×3, first 2 shown]
	v_mul_f64 v[68:69], v[46:47], s[22:23]
	v_add_f64 v[70:71], v[74:75], v[86:87]
	v_fma_f64 v[74:75], v[44:45], s[44:45], v[48:49]
	v_fma_f64 v[48:49], v[44:45], s[18:19], v[48:49]
	;; [unrolled: 1-line block ×3, first 2 shown]
	v_add_f64 v[66:67], v[66:67], v[76:77]
	v_add_f64 v[76:77], v[88:89], v[106:107]
	v_fma_f64 v[54:55], v[44:45], s[34:35], v[54:55]
	v_fma_f64 v[88:89], v[44:45], s[36:37], v[68:69]
	v_add_f64 v[40:41], v[40:41], v[42:43]
	v_add_f64 v[52:53], v[52:53], v[56:57]
	;; [unrolled: 1-line block ×3, first 2 shown]
	v_mul_f64 v[58:59], v[46:47], s[40:41]
	v_add_f64 v[56:57], v[74:75], v[90:91]
	v_add_f64 v[74:75], v[86:87], v[102:103]
	v_mul_f64 v[86:87], v[46:47], s[26:27]
	v_mul_f64 v[42:43], v[46:47], s[24:25]
	v_fma_f64 v[46:47], v[44:45], s[6:7], v[68:69]
	v_add_f64 v[54:55], v[54:55], v[62:63]
	v_add_f64 v[62:63], v[88:89], v[64:65]
	v_fma_f64 v[64:65], v[44:45], s[30:31], v[58:59]
	v_add_f64 v[36:37], v[36:37], -v[38:39]
	v_mul_f64 v[38:39], v[40:41], s[40:41]
	v_add_f64 v[82:83], v[134:135], v[82:83]
	v_fma_f64 v[58:59], v[44:45], s[46:47], v[58:59]
	v_fma_f64 v[68:69], v[44:45], s[20:21], v[86:87]
	;; [unrolled: 1-line block ×5, first 2 shown]
	v_add_f64 v[44:45], v[46:47], v[50:51]
	v_mul_f64 v[50:51], v[40:41], s[26:27]
	v_add_f64 v[46:47], v[64:65], v[60:61]
	v_fma_f64 v[64:65], v[36:37], s[46:47], v[38:39]
	v_fma_f64 v[38:39], v[36:37], s[30:31], v[38:39]
	v_add_f64 v[82:83], v[126:127], v[82:83]
	v_add_f64 v[60:61], v[68:69], v[70:71]
	;; [unrolled: 1-line block ×3, first 2 shown]
	v_mul_f64 v[70:71], v[40:41], s[28:29]
	v_fma_f64 v[52:53], v[36:37], s[20:21], v[50:51]
	v_fma_f64 v[50:51], v[36:37], s[42:43], v[50:51]
	v_add_f64 v[56:57], v[64:65], v[56:57]
	v_mul_f64 v[64:65], v[40:41], s[22:23]
	v_add_f64 v[38:39], v[38:39], v[48:49]
	v_mul_f64 v[48:49], v[40:41], s[24:25]
	;; [unrolled: 2-line block ×3, first 2 shown]
	v_add_f64 v[58:59], v[58:59], v[66:67]
	v_add_f64 v[50:51], v[50:51], v[54:55]
	v_fma_f64 v[54:55], v[36:37], s[44:45], v[70:71]
	v_add_f64 v[66:67], v[86:87], v[76:77]
	v_add_f64 v[52:53], v[52:53], v[74:75]
	v_fma_f64 v[74:75], v[36:37], s[6:7], v[64:65]
	v_fma_f64 v[64:65], v[36:37], s[36:37], v[64:65]
	;; [unrolled: 1-line block ×3, first 2 shown]
	v_add_f64 v[68:69], v[88:89], v[82:83]
	v_fma_f64 v[82:83], v[36:37], s[4:5], v[40:41]
	v_fma_f64 v[40:41], v[36:37], s[34:35], v[40:41]
	;; [unrolled: 1-line block ×4, first 2 shown]
	v_add_f64 v[48:49], v[54:55], v[62:63]
	v_add_f64 v[46:47], v[74:75], v[46:47]
	;; [unrolled: 1-line block ×8, first 2 shown]
	ds_write2_b64 v172, v[92:93], v[116:117] offset0:16 offset1:18
	ds_write2_b64 v172, v[114:115], v[96:97] offset0:20 offset1:22
	ds_write_b64 v172, v[110:111] offset:192
	ds_write2_b64 v152, v[84:85], v[56:57] offset1:2
	ds_write2_b64 v152, v[52:53], v[48:49] offset0:4 offset1:6
	ds_write2_b64 v152, v[46:47], v[58:59] offset0:8 offset1:10
	ds_write2_b64 v152, v[60:61], v[40:41] offset0:12 offset1:14
	ds_write2_b64 v152, v[36:37], v[54:55] offset0:16 offset1:18
	ds_write2_b64 v152, v[44:45], v[50:51] offset0:20 offset1:22
	ds_write_b64 v152, v[38:39] offset:192
	v_mul_lo_u16_sdwa v36, v185, s0 dst_sel:DWORD dst_unused:UNUSED_PAD src0_sel:BYTE_0 src1_sel:DWORD
	v_lshrrev_b16_e32 v74, 11, v36
	v_mul_lo_u16_e32 v36, 26, v74
	v_sub_u16_e32 v75, v185, v36
	v_mov_b32_e32 v36, 12
	v_mul_u32_u24_sdwa v36, v75, v36 dst_sel:DWORD dst_unused:UNUSED_PAD src0_sel:BYTE_0 src1_sel:DWORD
	v_lshlrev_b32_e32 v77, 4, v36
	s_waitcnt lgkmcnt(0)
	; wave barrier
	s_waitcnt lgkmcnt(0)
	global_load_dwordx4 v[56:59], v77, s[8:9] offset:400
	global_load_dwordx4 v[82:85], v77, s[8:9] offset:416
	global_load_dwordx4 v[86:89], v77, s[8:9] offset:432
	global_load_dwordx4 v[118:121], v77, s[8:9] offset:448
	v_subrev_u32_e32 v162, 26, v178
	v_cmp_gt_u32_e64 s[0:1], 26, v178
	v_cndmask_b32_e64 v76, v162, v178, s[0:1]
	v_mul_i32_i24_e32 v36, 12, v76
	v_mov_b32_e32 v37, 0
	v_lshlrev_b64 v[36:37], 4, v[36:37]
	v_mov_b32_e32 v38, s9
	v_add_co_u32_e64 v96, s[2:3], s8, v36
	v_addc_co_u32_e64 v97, s[2:3], v38, v37, s[2:3]
	global_load_dwordx4 v[128:131], v[96:97], off offset:480
	global_load_dwordx4 v[132:135], v77, s[8:9] offset:464
	global_load_dwordx4 v[136:139], v[96:97], off offset:496
	global_load_dwordx4 v[140:143], v77, s[8:9] offset:480
	;; [unrolled: 2-line block ×5, first 2 shown]
	global_load_dwordx4 v[40:43], v[96:97], off offset:560
	ds_read2_b64 v[90:93], v194 offset0:4 offset1:108
	global_load_dwordx4 v[44:47], v77, s[8:9] offset:544
	global_load_dwordx4 v[48:51], v77, s[8:9] offset:384
	ds_read2_b64 v[167:170], v205 offset0:84 offset1:188
	global_load_dwordx4 v[68:71], v[96:97], off offset:384
	global_load_dwordx4 v[64:67], v[96:97], off offset:448
	ds_read2_b64 v[171:174], v189 offset0:164 offset1:216
	v_cmp_lt_u32_e64 s[2:3], 25, v178
	v_lshlrev_b32_e32 v76, 3, v76
	s_waitcnt vmcnt(18) lgkmcnt(2)
	v_mul_f64 v[52:53], v[90:91], v[58:59]
	s_waitcnt vmcnt(17)
	v_mul_f64 v[60:61], v[92:93], v[84:85]
	v_mul_f64 v[58:59], v[32:33], v[58:59]
	s_waitcnt vmcnt(15)
	v_mul_f64 v[102:103], v[30:31], v[120:121]
	s_waitcnt vmcnt(14) lgkmcnt(0)
	v_mul_f64 v[114:115], v[173:174], v[130:131]
	v_fma_f64 v[122:123], v[32:33], v[56:57], v[52:53]
	global_load_dwordx4 v[52:55], v[96:97], off offset:400
	v_mul_f64 v[32:33], v[34:35], v[84:85]
	v_fma_f64 v[116:117], v[34:35], v[82:83], v[60:61]
	v_mul_f64 v[34:35], v[167:168], v[88:89]
	v_mul_f64 v[84:85], v[28:29], v[88:89]
	;; [unrolled: 1-line block ×3, first 2 shown]
	v_fma_f64 v[124:125], v[90:91], v[56:57], -v[58:59]
	global_load_dwordx4 v[60:63], v[96:97], off offset:416
	global_load_dwordx4 v[56:59], v[96:97], off offset:432
	v_fma_f64 v[120:121], v[92:93], v[82:83], -v[32:33]
	v_mul_f64 v[82:83], v[26:27], v[130:131]
	v_fma_f64 v[106:107], v[28:29], v[86:87], v[34:35]
	global_load_dwordx4 v[32:35], v[96:97], off offset:464
	v_fma_f64 v[126:127], v[26:27], v[128:129], v[114:115]
	global_load_dwordx4 v[26:29], v77, s[8:9] offset:560
	v_fma_f64 v[90:91], v[30:31], v[118:119], v[88:89]
	s_waitcnt vmcnt(18)
	v_mul_f64 v[30:31], v[171:172], v[134:135]
	v_fma_f64 v[110:111], v[167:168], v[86:87], -v[84:85]
	v_fma_f64 v[128:129], v[173:174], v[128:129], -v[82:83]
	ds_read2_b64 v[173:176], v190 offset0:116 offset1:168
	v_fma_f64 v[92:93], v[169:170], v[118:119], -v[102:103]
	ds_read2_b64 v[167:170], v190 offset0:12 offset1:64
	v_mul_f64 v[84:85], v[24:25], v[134:135]
	s_waitcnt vmcnt(17)
	v_mul_f64 v[96:97], v[22:23], v[138:139]
	v_fma_f64 v[82:83], v[24:25], v[132:133], v[30:31]
	s_waitcnt vmcnt(15) lgkmcnt(1)
	v_mul_f64 v[24:25], v[175:176], v[146:147]
	s_waitcnt lgkmcnt(0)
	v_mul_f64 v[88:89], v[169:170], v[138:139]
	v_mul_f64 v[114:115], v[20:21], v[142:143]
	;; [unrolled: 1-line block ×4, first 2 shown]
	v_fma_f64 v[86:87], v[171:172], v[132:133], -v[84:85]
	v_fma_f64 v[132:133], v[169:170], v[136:137], -v[96:97]
	s_waitcnt vmcnt(12)
	v_mul_f64 v[138:139], v[12:13], v[158:159]
	v_fma_f64 v[134:135], v[18:19], v[144:145], v[24:25]
	v_mul_f64 v[18:19], v[173:174], v[150:151]
	v_fma_f64 v[130:131], v[22:23], v[136:137], v[88:89]
	v_fma_f64 v[88:89], v[167:168], v[140:141], -v[114:115]
	ds_read2_b64 v[167:170], v191 offset0:68 offset1:120
	v_fma_f64 v[84:85], v[20:21], v[140:141], v[102:103]
	ds_read2_b64 v[20:23], v193 offset0:92 offset1:144
	v_mul_f64 v[24:25], v[16:17], v[150:151]
	v_fma_f64 v[136:137], v[175:176], v[144:145], -v[30:31]
	v_fma_f64 v[96:97], v[16:17], v[148:149], v[18:19]
	s_waitcnt vmcnt(11) lgkmcnt(1)
	v_mul_f64 v[16:17], v[169:170], v[165:166]
	s_waitcnt lgkmcnt(0)
	v_mul_f64 v[30:31], v[22:23], v[154:155]
	v_mul_f64 v[114:115], v[14:15], v[154:155]
	;; [unrolled: 1-line block ×4, first 2 shown]
	v_fma_f64 v[102:103], v[173:174], v[148:149], -v[24:25]
	ds_read_b64 v[24:25], v199
	s_waitcnt vmcnt(6)
	v_mul_f64 v[150:151], v[108:109], v[70:71]
	v_fma_f64 v[144:145], v[10:11], v[163:164], v[16:17]
	v_mul_f64 v[10:11], v[167:168], v[38:39]
	v_fma_f64 v[142:143], v[14:15], v[152:153], v[30:31]
	v_fma_f64 v[140:141], v[22:23], v[152:153], -v[114:115]
	v_fma_f64 v[114:115], v[12:13], v[156:157], v[118:119]
	ds_read2_b64 v[12:15], v191 offset0:172 offset1:224
	v_fma_f64 v[118:119], v[20:21], v[156:157], -v[138:139]
	v_fma_f64 v[138:139], v[169:170], v[163:164], -v[18:19]
	v_mul_f64 v[16:17], v[8:9], v[38:39]
	v_mul_f64 v[20:21], v[6:7], v[42:43]
	s_waitcnt lgkmcnt(0)
	v_mul_f64 v[18:19], v[14:15], v[42:43]
	v_mul_f64 v[22:23], v[12:13], v[46:47]
	;; [unrolled: 1-line block ×3, first 2 shown]
	v_fma_f64 v[42:43], v[8:9], v[36:37], v[10:11]
	v_mul_f64 v[30:31], v[4:5], v[46:47]
	ds_read_b64 v[38:39], v200
	ds_read_b64 v[163:164], v188 offset:10400
	ds_read_b64 v[146:147], v192
	v_fma_f64 v[160:161], v[24:25], v[68:69], -v[150:151]
	v_fma_f64 v[70:71], v[14:15], v[40:41], -v[20:21]
	v_fma_f64 v[156:157], v[6:7], v[40:41], v[18:19]
	v_fma_f64 v[40:41], v[4:5], v[44:45], v[22:23]
	;; [unrolled: 1-line block ×3, first 2 shown]
	ds_read_b64 v[6:7], v204
	v_fma_f64 v[44:45], v[12:13], v[44:45], -v[30:31]
	ds_read_b64 v[10:11], v201
	ds_read_b64 v[12:13], v202
	ds_read_b64 v[14:15], v203
	v_fma_f64 v[46:47], v[167:168], v[36:37], -v[16:17]
	s_waitcnt vmcnt(5)
	v_mul_f64 v[24:25], v[94:95], v[66:67]
	s_waitcnt lgkmcnt(1)
	v_mul_f64 v[22:23], v[12:13], v[66:67]
	s_waitcnt vmcnt(4)
	v_mul_f64 v[8:9], v[104:105], v[54:55]
	v_mul_f64 v[4:5], v[38:39], v[54:55]
	s_waitcnt vmcnt(3)
	v_mul_f64 v[16:17], v[6:7], v[62:63]
	v_fma_f64 v[150:151], v[38:39], v[52:53], -v[8:9]
	v_mul_f64 v[18:19], v[100:101], v[62:63]
	v_fma_f64 v[154:155], v[104:105], v[52:53], v[4:5]
	s_waitcnt vmcnt(2)
	v_mul_f64 v[4:5], v[10:11], v[58:59]
	s_waitcnt vmcnt(1)
	v_mul_f64 v[8:9], v[80:81], v[34:35]
	v_mul_f64 v[20:21], v[98:99], v[58:59]
	ds_read2_b64 v[36:39], v188 offset1:156
	v_fma_f64 v[152:153], v[100:101], v[60:61], v[16:17]
	v_fma_f64 v[62:63], v[12:13], v[64:65], -v[24:25]
	v_fma_f64 v[148:149], v[6:7], v[60:61], -v[18:19]
	s_waitcnt lgkmcnt(1)
	v_mul_f64 v[6:7], v[14:15], v[34:35]
	v_fma_f64 v[66:67], v[98:99], v[56:57], v[4:5]
	v_fma_f64 v[58:59], v[14:15], v[32:33], -v[8:9]
	v_add_f64 v[8:9], v[0:1], v[158:159]
	v_add_f64 v[4:5], v[160:161], -v[70:71]
	s_waitcnt lgkmcnt(0)
	v_mul_f64 v[12:13], v[38:39], v[50:51]
	v_fma_f64 v[68:69], v[10:11], v[56:57], -v[20:21]
	s_waitcnt vmcnt(0)
	v_mul_f64 v[10:11], v[78:79], v[28:29]
	v_fma_f64 v[56:57], v[80:81], v[32:33], v[6:7]
	v_mul_f64 v[6:7], v[163:164], v[28:29]
	v_mul_f64 v[16:17], v[2:3], v[50:51]
	v_add_f64 v[8:9], v[8:9], v[154:155]
	v_add_f64 v[18:19], v[158:159], v[156:157]
	v_mul_f64 v[20:21], v[4:5], s[20:21]
	v_fma_f64 v[54:55], v[2:3], v[48:49], v[12:13]
	v_add_f64 v[2:3], v[150:151], -v[138:139]
	v_fma_f64 v[60:61], v[94:95], v[64:65], v[22:23]
	v_fma_f64 v[52:53], v[78:79], v[26:27], v[6:7]
	v_fma_f64 v[50:51], v[163:164], v[26:27], -v[10:11]
	v_add_f64 v[8:9], v[8:9], v[152:153]
	v_add_f64 v[26:27], v[148:149], -v[140:141]
	v_fma_f64 v[6:7], v[18:19], s[26:27], v[20:21]
	v_fma_f64 v[10:11], v[18:19], s[26:27], -v[20:21]
	v_add_f64 v[20:21], v[154:155], v[144:145]
	v_mul_f64 v[22:23], v[2:3], s[6:7]
	v_add_f64 v[32:33], v[152:153], v[142:143]
	v_add_f64 v[64:65], v[68:69], -v[136:137]
	v_add_f64 v[8:9], v[8:9], v[66:67]
	v_mul_f64 v[34:35], v[26:27], s[4:5]
	v_add_f64 v[6:7], v[0:1], v[6:7]
	v_fma_f64 v[38:39], v[38:39], v[48:49], -v[16:17]
	v_mul_f64 v[12:13], v[4:5], s[6:7]
	v_fma_f64 v[30:31], v[20:21], s[22:23], v[22:23]
	v_mul_f64 v[14:15], v[4:5], s[4:5]
	v_mul_f64 v[16:17], v[4:5], s[10:11]
	v_add_f64 v[8:9], v[8:9], v[60:61]
	v_mul_f64 v[24:25], v[4:5], s[18:19]
	v_mul_f64 v[4:5], v[4:5], s[30:31]
	v_add_f64 v[79:80], v[66:67], v[134:135]
	v_mul_f64 v[94:95], v[64:65], s[10:11]
	v_add_f64 v[6:7], v[30:31], v[6:7]
	v_fma_f64 v[30:31], v[32:33], s[16:17], v[34:35]
	v_add_f64 v[100:101], v[62:63], -v[132:133]
	v_add_f64 v[8:9], v[8:9], v[56:57]
	v_fma_f64 v[28:29], v[18:19], s[22:23], v[12:13]
	v_fma_f64 v[12:13], v[18:19], s[22:23], -v[12:13]
	v_fma_f64 v[48:49], v[18:19], s[16:17], v[14:15]
	v_fma_f64 v[14:15], v[18:19], s[16:17], -v[14:15]
	;; [unrolled: 2-line block ×5, first 2 shown]
	v_add_f64 v[6:7], v[30:31], v[6:7]
	v_fma_f64 v[18:19], v[79:80], s[24:25], v[94:95]
	v_add_f64 v[30:31], v[60:61], v[130:131]
	v_mul_f64 v[108:109], v[100:101], s[18:19]
	v_add_f64 v[163:164], v[58:59], -v[128:129]
	v_add_f64 v[8:9], v[8:9], v[126:127]
	v_add_f64 v[165:166], v[56:57], v[126:127]
	v_mul_f64 v[169:170], v[2:3], s[10:11]
	v_add_f64 v[28:29], v[0:1], v[28:29]
	v_add_f64 v[6:7], v[18:19], v[6:7]
	v_mul_f64 v[173:174], v[2:3], s[30:31]
	v_fma_f64 v[18:19], v[30:31], s[28:29], v[108:109]
	v_mul_f64 v[167:168], v[163:164], s[30:31]
	v_add_f64 v[8:9], v[8:9], v[130:131]
	v_add_f64 v[10:11], v[0:1], v[10:11]
	v_fma_f64 v[171:172], v[20:21], s[24:25], v[169:170]
	v_add_f64 v[12:13], v[0:1], v[12:13]
	v_add_f64 v[48:49], v[0:1], v[48:49]
	;; [unrolled: 1-line block ×4, first 2 shown]
	v_fma_f64 v[18:19], v[165:166], s[40:41], v[167:168]
	v_add_f64 v[8:9], v[8:9], v[134:135]
	v_add_f64 v[77:78], v[0:1], v[77:78]
	;; [unrolled: 1-line block ×6, first 2 shown]
	v_mul_f64 v[175:176], v[26:27], s[30:31]
	v_add_f64 v[0:1], v[0:1], v[4:5]
	v_add_f64 v[4:5], v[18:19], v[6:7]
	;; [unrolled: 1-line block ×4, first 2 shown]
	v_fma_f64 v[18:19], v[20:21], s[40:41], v[173:174]
	v_mul_f64 v[28:29], v[26:27], s[38:39]
	v_mul_f64 v[201:202], v[64:65], s[44:45]
	v_fma_f64 v[171:172], v[32:33], s[40:41], v[175:176]
	v_mul_f64 v[205:206], v[64:65], s[42:43]
	v_mul_f64 v[207:208], v[100:101], s[34:35]
	v_add_f64 v[6:7], v[6:7], v[144:145]
	v_mul_f64 v[209:210], v[2:3], s[44:45]
	v_add_f64 v[18:19], v[18:19], v[48:49]
	v_fma_f64 v[203:204], v[32:33], s[24:25], v[28:29]
	v_mov_b32_e32 v81, 0xa90
	v_add_f64 v[8:9], v[171:172], v[8:9]
	v_fma_f64 v[171:172], v[79:80], s[28:29], v[201:202]
	v_cndmask_b32_e64 v81, 0, v81, s[2:3]
	v_add_f64 v[6:7], v[6:7], v[156:157]
	v_add3_u32 v48, 0, v81, v76
	v_add_f64 v[18:19], v[203:204], v[18:19]
	v_fma_f64 v[203:204], v[79:80], s[26:27], v[205:206]
	; wave barrier
	v_mul_f64 v[211:212], v[100:101], s[6:7]
	v_add_f64 v[8:9], v[171:172], v[8:9]
	v_fma_f64 v[171:172], v[30:31], s[16:17], v[207:208]
	ds_write2_b64 v48, v[6:7], v[4:5] offset1:26
	v_mul_f64 v[4:5], v[2:3], s[34:35]
	v_mul_f64 v[213:214], v[163:164], s[42:43]
	v_add_f64 v[6:7], v[203:204], v[18:19]
	v_fma_f64 v[18:19], v[20:21], s[28:29], v[209:210]
	v_mul_f64 v[203:204], v[26:27], s[42:43]
	v_add_f64 v[8:9], v[171:172], v[8:9]
	v_fma_f64 v[171:172], v[30:31], s[22:23], v[211:212]
	v_mul_f64 v[215:216], v[163:164], s[18:19]
	v_fma_f64 v[217:218], v[20:21], s[16:17], v[4:5]
	v_mul_f64 v[219:220], v[26:27], s[6:7]
	v_mul_f64 v[221:222], v[64:65], s[4:5]
	v_add_f64 v[18:19], v[18:19], v[77:78]
	v_fma_f64 v[76:77], v[32:33], s[26:27], v[203:204]
	v_mul_f64 v[225:226], v[64:65], s[46:47]
	v_add_f64 v[6:7], v[171:172], v[6:7]
	v_fma_f64 v[171:172], v[165:166], s[26:27], v[213:214]
	v_fma_f64 v[223:224], v[165:166], s[28:29], v[215:216]
	v_add_f64 v[98:99], v[217:218], v[98:99]
	v_fma_f64 v[217:218], v[32:33], s[22:23], v[219:220]
	v_mul_f64 v[227:228], v[100:101], s[46:47]
	v_add_f64 v[18:19], v[76:77], v[18:19]
	v_fma_f64 v[76:77], v[79:80], s[16:17], v[221:222]
	v_mul_f64 v[2:3], v[2:3], s[42:43]
	v_add_f64 v[8:9], v[171:172], v[8:9]
	v_add_f64 v[6:7], v[223:224], v[6:7]
	v_fma_f64 v[171:172], v[79:80], s[40:41], v[225:226]
	v_add_f64 v[98:99], v[217:218], v[98:99]
	v_mul_f64 v[217:218], v[100:101], s[42:43]
	v_mul_f64 v[26:27], v[26:27], s[18:19]
	v_add_f64 v[18:19], v[76:77], v[18:19]
	v_fma_f64 v[76:77], v[30:31], s[40:41], v[227:228]
	v_fma_f64 v[223:224], v[20:21], s[26:27], v[2:3]
	v_fma_f64 v[2:3], v[20:21], s[26:27], -v[2:3]
	ds_write2_b64 v48, v[8:9], v[6:7] offset0:52 offset1:78
	v_add_f64 v[6:7], v[171:172], v[98:99]
	v_fma_f64 v[8:9], v[30:31], s[26:27], v[217:218]
	v_mul_f64 v[98:99], v[163:164], s[36:37]
	v_mul_f64 v[64:65], v[64:65], s[36:37]
	v_add_f64 v[18:19], v[76:77], v[18:19]
	v_add_f64 v[76:77], v[223:224], v[104:105]
	;; [unrolled: 1-line block ×3, first 2 shown]
	v_fma_f64 v[2:3], v[32:33], s[28:29], v[26:27]
	v_fma_f64 v[26:27], v[32:33], s[28:29], -v[26:27]
	v_add_f64 v[6:7], v[8:9], v[6:7]
	v_fma_f64 v[8:9], v[165:166], s[22:23], v[98:99]
	v_fma_f64 v[104:105], v[20:21], s[28:29], -v[209:210]
	v_fma_f64 v[4:5], v[20:21], s[16:17], -v[4:5]
	v_mul_f64 v[171:172], v[163:164], s[10:11]
	v_add_u32_e32 v49, 0x800, v48
	v_add_f64 v[2:3], v[2:3], v[76:77]
	v_add_f64 v[0:1], v[26:27], v[0:1]
	v_fma_f64 v[26:27], v[79:80], s[22:23], v[64:65]
	v_fma_f64 v[64:65], v[79:80], s[22:23], -v[64:65]
	v_mul_f64 v[76:77], v[100:101], s[10:11]
	v_add_f64 v[16:17], v[104:105], v[16:17]
	v_add_f64 v[4:5], v[4:5], v[24:25]
	v_fma_f64 v[24:25], v[32:33], s[26:27], -v[203:204]
	v_fma_f64 v[100:101], v[32:33], s[22:23], -v[219:220]
	v_add_f64 v[8:9], v[8:9], v[18:19]
	v_fma_f64 v[18:19], v[165:166], s[24:25], v[171:172]
	v_add_f64 v[2:3], v[26:27], v[2:3]
	v_fma_f64 v[26:27], v[30:31], s[24:25], v[76:77]
	v_add_f64 v[0:1], v[64:65], v[0:1]
	v_fma_f64 v[64:65], v[30:31], s[24:25], -v[76:77]
	v_add_f64 v[16:17], v[24:25], v[16:17]
	v_add_f64 v[4:5], v[100:101], v[4:5]
	v_fma_f64 v[24:25], v[79:80], s[16:17], -v[221:222]
	v_fma_f64 v[76:77], v[79:80], s[40:41], -v[225:226]
	v_add_f64 v[6:7], v[18:19], v[6:7]
	v_add_f64 v[2:3], v[26:27], v[2:3]
	v_fma_f64 v[18:19], v[20:21], s[24:25], -v[169:170]
	v_fma_f64 v[26:27], v[20:21], s[40:41], -v[173:174]
	v_add_f64 v[0:1], v[64:65], v[0:1]
	v_mul_f64 v[64:65], v[163:164], s[34:35]
	v_add_f64 v[16:17], v[24:25], v[16:17]
	v_add_f64 v[4:5], v[76:77], v[4:5]
	v_fma_f64 v[24:25], v[30:31], s[40:41], -v[227:228]
	v_fma_f64 v[76:77], v[30:31], s[26:27], -v[217:218]
	v_add_f64 v[12:13], v[18:19], v[12:13]
	v_add_f64 v[14:15], v[26:27], v[14:15]
	v_fma_f64 v[18:19], v[32:33], s[40:41], -v[175:176]
	v_fma_f64 v[26:27], v[32:33], s[24:25], -v[28:29]
	v_fma_f64 v[28:29], v[165:166], s[16:17], v[64:65]
	v_fma_f64 v[64:65], v[165:166], s[16:17], -v[64:65]
	v_add_f64 v[16:17], v[24:25], v[16:17]
	v_add_f64 v[4:5], v[76:77], v[4:5]
	v_fma_f64 v[24:25], v[165:166], s[22:23], -v[98:99]
	v_fma_f64 v[76:77], v[165:166], s[24:25], -v[171:172]
	v_add_f64 v[12:13], v[18:19], v[12:13]
	v_add_f64 v[14:15], v[26:27], v[14:15]
	v_fma_f64 v[18:19], v[79:80], s[28:29], -v[201:202]
	v_fma_f64 v[26:27], v[79:80], s[26:27], -v[205:206]
	ds_write2_b64 v48, v[8:9], v[6:7] offset0:104 offset1:130
	v_add_f64 v[2:3], v[28:29], v[2:3]
	v_add_f64 v[0:1], v[64:65], v[0:1]
	v_add_f64 v[6:7], v[38:39], -v[50:51]
	v_add_f64 v[8:9], v[24:25], v[16:17]
	v_add_f64 v[4:5], v[76:77], v[4:5]
	;; [unrolled: 1-line block ×4, first 2 shown]
	v_fma_f64 v[16:17], v[30:31], s[16:17], -v[207:208]
	v_fma_f64 v[18:19], v[30:31], s[22:23], -v[211:212]
	v_add_f64 v[24:25], v[54:55], v[52:53]
	v_mul_f64 v[26:27], v[6:7], s[20:21]
	ds_write2_b64 v48, v[2:3], v[0:1] offset0:156 offset1:182
	v_add_f64 v[0:1], v[124:125], -v[44:45]
	v_fma_f64 v[2:3], v[20:21], s[22:23], -v[22:23]
	v_add_f64 v[20:21], v[72:73], v[54:55]
	ds_write2_b64 v48, v[4:5], v[8:9] offset0:208 offset1:234
	v_add_f64 v[4:5], v[16:17], v[12:13]
	v_add_f64 v[8:9], v[18:19], v[14:15]
	v_fma_f64 v[12:13], v[24:25], s[26:27], v[26:27]
	v_add_f64 v[14:15], v[122:123], v[40:41]
	v_mul_f64 v[16:17], v[0:1], s[6:7]
	v_add_f64 v[2:3], v[2:3], v[10:11]
	v_add_f64 v[10:11], v[20:21], v[122:123]
	v_add_f64 v[18:19], v[120:121], -v[46:47]
	v_fma_f64 v[20:21], v[32:33], s[16:17], -v[34:35]
	v_fma_f64 v[22:23], v[165:166], s[26:27], -v[213:214]
	;; [unrolled: 1-line block ×3, first 2 shown]
	v_add_f64 v[12:13], v[72:73], v[12:13]
	v_fma_f64 v[32:33], v[14:15], s[22:23], v[16:17]
	v_add_f64 v[34:35], v[116:117], v[42:43]
	v_add_f64 v[10:11], v[10:11], v[116:117]
	v_mul_f64 v[76:77], v[18:19], s[4:5]
	v_add_f64 v[2:3], v[20:21], v[2:3]
	v_add_f64 v[20:21], v[110:111], -v[118:119]
	v_fma_f64 v[64:65], v[79:80], s[24:25], -v[94:95]
	v_add_f64 v[4:5], v[22:23], v[4:5]
	v_add_f64 v[8:9], v[28:29], v[8:9]
	;; [unrolled: 1-line block ×4, first 2 shown]
	v_fma_f64 v[22:23], v[34:35], s[16:17], v[76:77]
	v_add_f64 v[28:29], v[106:107], v[114:115]
	v_mul_f64 v[32:33], v[20:21], s[10:11]
	v_add_f64 v[2:3], v[64:65], v[2:3]
	v_fma_f64 v[30:31], v[30:31], s[28:29], -v[108:109]
	ds_write2_b64 v49, v[8:9], v[4:5] offset0:4 offset1:30
	v_mul_f64 v[80:81], v[6:7], s[6:7]
	v_add_f64 v[10:11], v[10:11], v[90:91]
	v_add_f64 v[4:5], v[22:23], v[12:13]
	v_fma_f64 v[64:65], v[165:166], s[40:41], -v[167:168]
	v_fma_f64 v[8:9], v[28:29], s[24:25], v[32:33]
	v_mul_f64 v[108:109], v[0:1], s[10:11]
	v_add_f64 v[2:3], v[30:31], v[2:3]
	v_mul_f64 v[163:164], v[0:1], s[30:31]
	v_fma_f64 v[104:105], v[24:25], s[22:23], v[80:81]
	v_add_f64 v[10:11], v[10:11], v[82:83]
	v_mul_f64 v[171:172], v[18:19], s[38:39]
	v_mov_b32_e32 v173, 3
	v_add_f64 v[4:5], v[8:9], v[4:5]
	v_mul_f64 v[8:9], v[6:7], s[4:5]
	v_add_f64 v[2:3], v[64:65], v[2:3]
	v_fma_f64 v[165:166], v[14:15], s[24:25], v[108:109]
	v_add_f64 v[104:105], v[72:73], v[104:105]
	v_add_f64 v[10:11], v[10:11], v[84:85]
	v_fma_f64 v[169:170], v[14:15], s[40:41], v[163:164]
	v_lshlrev_b32_sdwa v177, v173, v75 dst_sel:DWORD dst_unused:UNUSED_PAD src0_sel:DWORD src1_sel:BYTE_0
	v_mul_u32_u24_e32 v207, 0xa90, v74
	v_fma_f64 v[64:65], v[24:25], s[16:17], v[8:9]
	ds_write_b64 v48, v[2:3] offset:2496
	v_mul_f64 v[74:75], v[6:7], s[10:11]
	v_mul_f64 v[209:210], v[0:1], s[44:45]
	v_add_f64 v[10:11], v[10:11], v[96:97]
	v_mul_f64 v[205:206], v[6:7], s[18:19]
	v_mul_f64 v[215:216], v[18:19], s[42:43]
	;; [unrolled: 1-line block ×3, first 2 shown]
	v_add_f64 v[64:65], v[72:73], v[64:65]
	v_mul_f64 v[211:212], v[0:1], s[34:35]
	v_mul_f64 v[221:222], v[20:21], s[4:5]
	v_fma_f64 v[213:214], v[14:15], s[28:29], v[209:210]
	v_add_f64 v[2:3], v[10:11], v[114:115]
	v_add_f64 v[10:11], v[165:166], v[104:105]
	v_fma_f64 v[165:166], v[34:35], s[24:25], v[171:172]
	v_fma_f64 v[225:226], v[24:25], s[40:41], v[6:7]
	v_add_f64 v[64:65], v[169:170], v[64:65]
	v_mul_f64 v[169:170], v[20:21], s[42:43]
	v_mul_f64 v[0:1], v[0:1], s[42:43]
	v_add_f64 v[78:79], v[92:93], -v[102:103]
	v_mul_f64 v[167:168], v[18:19], s[30:31]
	v_mul_f64 v[219:220], v[18:19], s[6:7]
	v_fma_f64 v[6:7], v[24:25], s[40:41], -v[6:7]
	v_add_f64 v[225:226], v[72:73], v[225:226]
	v_add_f64 v[64:65], v[165:166], v[64:65]
	v_fma_f64 v[165:166], v[28:29], s[26:27], v[169:170]
	v_fma_f64 v[229:230], v[14:15], s[26:27], v[0:1]
	v_mul_f64 v[18:19], v[18:19], s[18:19]
	v_add_f64 v[12:13], v[90:91], v[96:97]
	v_mul_f64 v[22:23], v[78:79], s[18:19]
	v_add_f64 v[30:31], v[86:87], -v[88:89]
	v_mul_f64 v[104:105], v[20:21], s[44:45]
	v_mul_f64 v[175:176], v[78:79], s[6:7]
	v_add_f64 v[165:166], v[165:166], v[64:65]
	v_add3_u32 v64, 0, v207, v177
	v_fma_f64 v[207:208], v[24:25], s[24:25], v[74:75]
	v_mul_f64 v[227:228], v[20:21], s[46:47]
	v_add_f64 v[6:7], v[72:73], v[6:7]
	v_fma_f64 v[0:1], v[14:15], s[26:27], -v[0:1]
	v_mul_f64 v[20:21], v[20:21], s[36:37]
	v_fma_f64 v[94:95], v[12:13], s[28:29], v[22:23]
	v_add_f64 v[98:99], v[82:83], v[84:85]
	v_mul_f64 v[100:101], v[30:31], s[30:31]
	v_add_f64 v[207:208], v[72:73], v[207:208]
	v_mul_f64 v[173:174], v[78:79], s[34:35]
	v_fma_f64 v[203:204], v[12:13], s[22:23], v[175:176]
	v_mul_f64 v[231:232], v[78:79], s[46:47]
	v_add_f64 v[0:1], v[0:1], v[6:7]
	v_fma_f64 v[6:7], v[34:35], s[28:29], -v[18:19]
	v_add_f64 v[4:5], v[94:95], v[4:5]
	v_fma_f64 v[94:95], v[98:99], s[40:41], v[100:101]
	v_add_f64 v[207:208], v[213:214], v[207:208]
	v_fma_f64 v[213:214], v[34:35], s[26:27], v[215:216]
	;; [unrolled: 2-line block ×3, first 2 shown]
	v_fma_f64 v[217:218], v[14:15], s[16:17], v[211:212]
	v_add_f64 v[0:1], v[6:7], v[0:1]
	v_fma_f64 v[6:7], v[28:29], s[22:23], -v[20:21]
	v_add_f64 v[4:5], v[94:95], v[4:5]
	v_fma_f64 v[94:95], v[34:35], s[40:41], v[167:168]
	v_add_f64 v[207:208], v[213:214], v[207:208]
	v_fma_f64 v[213:214], v[28:29], s[16:17], v[221:222]
	v_add_f64 v[203:204], v[72:73], v[203:204]
	v_fma_f64 v[74:75], v[24:25], s[24:25], -v[74:75]
	v_fma_f64 v[8:9], v[24:25], s[16:17], -v[8:9]
	v_add_f64 v[0:1], v[6:7], v[0:1]
	v_fma_f64 v[6:7], v[24:25], s[28:29], -v[205:206]
	v_add_f64 v[10:11], v[94:95], v[10:11]
	v_fma_f64 v[94:95], v[28:29], s[28:29], v[104:105]
	v_add_f64 v[207:208], v[213:214], v[207:208]
	v_add_f64 v[213:214], v[229:230], v[225:226]
	v_fma_f64 v[225:226], v[34:35], s[28:29], v[18:19]
	v_mul_f64 v[229:230], v[78:79], s[42:43]
	v_mul_f64 v[78:79], v[78:79], s[10:11]
	v_add_f64 v[203:204], v[217:218], v[203:204]
	v_fma_f64 v[217:218], v[34:35], s[22:23], v[219:220]
	v_add_f64 v[74:75], v[72:73], v[74:75]
	v_add_f64 v[6:7], v[72:73], v[6:7]
	;; [unrolled: 1-line block ×4, first 2 shown]
	v_fma_f64 v[213:214], v[28:29], s[22:23], v[20:21]
	v_fma_f64 v[20:21], v[12:13], s[24:25], v[78:79]
	v_fma_f64 v[16:17], v[14:15], s[22:23], -v[16:17]
	v_add_f64 v[10:11], v[94:95], v[10:11]
	v_fma_f64 v[94:95], v[12:13], s[16:17], v[173:174]
	v_mul_f64 v[201:202], v[30:31], s[42:43]
	v_add_f64 v[203:204], v[217:218], v[203:204]
	v_fma_f64 v[217:218], v[28:29], s[40:41], v[227:228]
	v_add_f64 v[18:19], v[213:214], v[18:19]
	v_add_f64 v[2:3], v[2:3], v[42:43]
	v_mul_f64 v[233:234], v[30:31], s[36:37]
	v_mul_f64 v[235:236], v[30:31], s[10:11]
	v_add_f64 v[10:11], v[94:95], v[10:11]
	v_fma_f64 v[94:95], v[98:99], s[26:27], v[201:202]
	v_add_u32_e32 v65, 0x800, v64
	v_add_f64 v[203:204], v[217:218], v[203:204]
	v_add_f64 v[18:19], v[20:21], v[18:19]
	v_fma_f64 v[20:21], v[24:25], s[26:27], -v[26:27]
	v_fma_f64 v[26:27], v[24:25], s[22:23], -v[80:81]
	;; [unrolled: 1-line block ×5, first 2 shown]
	v_fma_f64 v[217:218], v[12:13], s[40:41], v[231:232]
	v_add_f64 v[10:11], v[94:95], v[10:11]
	v_mul_f64 v[94:95], v[30:31], s[18:19]
	v_add_f64 v[20:21], v[72:73], v[20:21]
	v_add_f64 v[26:27], v[72:73], v[26:27]
	v_fma_f64 v[72:73], v[14:15], s[24:25], -v[108:109]
	v_fma_f64 v[14:15], v[14:15], s[40:41], -v[163:164]
	v_add_f64 v[0:1], v[24:25], v[0:1]
	v_add_f64 v[24:25], v[78:79], v[74:75]
	v_fma_f64 v[74:75], v[34:35], s[26:27], -v[215:216]
	v_fma_f64 v[78:79], v[34:35], s[22:23], -v[219:220]
	v_add_f64 v[16:17], v[16:17], v[20:21]
	v_add_f64 v[6:7], v[80:81], v[6:7]
	;; [unrolled: 1-line block ×4, first 2 shown]
	v_fma_f64 v[14:15], v[34:35], s[16:17], -v[76:77]
	v_fma_f64 v[26:27], v[34:35], s[40:41], -v[167:168]
	;; [unrolled: 1-line block ×3, first 2 shown]
	v_add_f64 v[24:25], v[74:75], v[24:25]
	v_fma_f64 v[72:73], v[28:29], s[16:17], -v[221:222]
	v_fma_f64 v[74:75], v[28:29], s[40:41], -v[227:228]
	v_add_f64 v[6:7], v[78:79], v[6:7]
	v_add_f64 v[207:208], v[217:218], v[207:208]
	v_add_f64 v[14:15], v[14:15], v[16:17]
	v_add_f64 v[16:17], v[26:27], v[20:21]
	v_add_f64 v[8:9], v[34:35], v[8:9]
	v_fma_f64 v[20:21], v[28:29], s[24:25], -v[32:33]
	v_fma_f64 v[26:27], v[28:29], s[28:29], -v[104:105]
	;; [unrolled: 1-line block ×3, first 2 shown]
	v_fma_f64 v[217:218], v[12:13], s[26:27], v[229:230]
	v_add_f64 v[24:25], v[72:73], v[24:25]
	v_fma_f64 v[34:35], v[12:13], s[40:41], -v[231:232]
	v_fma_f64 v[72:73], v[12:13], s[26:27], -v[229:230]
	v_mul_f64 v[30:31], v[30:31], s[34:35]
	v_add_f64 v[14:15], v[20:21], v[14:15]
	v_add_f64 v[16:17], v[26:27], v[16:17]
	;; [unrolled: 1-line block ×3, first 2 shown]
	v_fma_f64 v[20:21], v[12:13], s[28:29], -v[22:23]
	v_fma_f64 v[22:23], v[12:13], s[16:17], -v[173:174]
	;; [unrolled: 1-line block ×3, first 2 shown]
	v_add_f64 v[6:7], v[74:75], v[6:7]
	v_add_f64 v[2:3], v[2:3], v[40:41]
	v_fma_f64 v[223:224], v[98:99], s[28:29], v[94:95]
	v_fma_f64 v[225:226], v[98:99], s[22:23], v[233:234]
	v_add_f64 v[203:204], v[217:218], v[203:204]
	v_add_f64 v[14:15], v[20:21], v[14:15]
	;; [unrolled: 1-line block ×4, first 2 shown]
	v_fma_f64 v[12:13], v[98:99], s[26:27], -v[201:202]
	v_fma_f64 v[20:21], v[98:99], s[28:29], -v[94:95]
	;; [unrolled: 1-line block ×3, first 2 shown]
	v_fma_f64 v[213:214], v[98:99], s[24:25], v[235:236]
	v_fma_f64 v[32:33], v[98:99], s[16:17], v[30:31]
	v_fma_f64 v[26:27], v[98:99], s[16:17], -v[30:31]
	v_add_f64 v[24:25], v[34:35], v[24:25]
	v_add_f64 v[6:7], v[72:73], v[6:7]
	v_fma_f64 v[28:29], v[98:99], s[22:23], -v[233:234]
	v_fma_f64 v[30:31], v[98:99], s[24:25], -v[235:236]
	v_add_f64 v[2:3], v[2:3], v[52:53]
	v_add_f64 v[74:75], v[12:13], v[16:17]
	;; [unrolled: 1-line block ×11, first 2 shown]
	ds_write2_b64 v64, v[2:3], v[4:5] offset1:26
	ds_write2_b64 v64, v[10:11], v[165:166] offset0:52 offset1:78
	ds_write2_b64 v64, v[207:208], v[34:35] offset0:104 offset1:130
	;; [unrolled: 1-line block ×5, first 2 shown]
	ds_write_b64 v64, v[76:77] offset:2496
	s_waitcnt lgkmcnt(0)
	; wave barrier
	s_waitcnt lgkmcnt(0)
	v_lshl_add_u32 v163, v181, 3, 0
	ds_read_b64 v[100:101], v199
	ds_read_b64 v[72:73], v200
	v_lshl_add_u32 v164, v183, 3, 0
	ds_read_b64 v[94:95], v188
	ds_read_b64 v[98:99], v192
	;; [unrolled: 1-line block ×4, first 2 shown]
	ds_read2_b64 v[8:11], v194 offset0:82 offset1:134
	ds_read2_b64 v[0:3], v189 offset0:164 offset1:216
	;; [unrolled: 1-line block ×9, first 2 shown]
	v_sub_u32_e32 v78, 0, v198
	v_add_u32_e32 v165, v195, v78
	v_sub_u32_e32 v167, 0, v196
	v_sub_u32_e32 v166, 0, v197
                                        ; implicit-def: $vgpr78_vgpr79
                                        ; implicit-def: $vgpr80_vgpr81
	s_and_saveexec_b64 s[2:3], s[0:1]
	s_cbranch_execz .LBB0_15
; %bb.14:
	ds_read_b64 v[76:77], v188 offset:5200
	ds_read_b64 v[78:79], v188 offset:7904
	ds_read_b64 v[74:75], v165
	ds_read_b64 v[80:81], v188 offset:10608
.LBB0_15:
	s_or_b64 exec, exec, s[2:3]
	v_add_f64 v[168:169], v[36:37], v[160:161]
	v_add_f64 v[156:157], v[158:159], -v[156:157]
	v_add_f64 v[158:159], v[150:151], v[138:139]
	v_add_f64 v[144:145], v[154:155], -v[144:145]
	v_add_f64 v[154:155], v[148:149], v[140:141]
	v_add_f64 v[160:161], v[160:161], v[70:71]
	v_add_f64 v[142:143], v[152:153], -v[142:143]
	v_add_f64 v[66:67], v[66:67], -v[134:135]
	v_add_f64 v[150:151], v[168:169], v[150:151]
	v_add_f64 v[60:61], v[60:61], -v[130:131]
	v_mul_f64 v[195:196], v[158:159], s[24:25]
	v_mul_f64 v[176:177], v[158:159], s[22:23]
	;; [unrolled: 1-line block ×6, first 2 shown]
	v_add_f64 v[148:149], v[150:151], v[148:149]
	v_mul_f64 v[172:173], v[160:161], s[24:25]
	v_mul_f64 v[174:175], v[160:161], s[28:29]
	;; [unrolled: 1-line block ×4, first 2 shown]
	v_fma_f64 v[211:212], v[156:157], s[36:37], v[168:169]
	v_mul_f64 v[199:200], v[158:159], s[16:17]
	v_mul_f64 v[158:159], v[158:159], s[26:27]
	v_add_f64 v[148:149], v[148:149], v[68:69]
	v_mul_f64 v[203:204], v[154:155], s[40:41]
	v_fma_f64 v[209:210], v[156:157], s[42:43], v[152:153]
	v_fma_f64 v[152:153], v[156:157], s[20:21], v[152:153]
	v_fma_f64 v[168:169], v[156:157], s[6:7], v[168:169]
	v_fma_f64 v[213:214], v[156:157], s[34:35], v[170:171]
	v_fma_f64 v[170:171], v[156:157], s[4:5], v[170:171]
	v_fma_f64 v[215:216], v[156:157], s[38:39], v[172:173]
	v_add_f64 v[148:149], v[148:149], v[62:63]
	v_fma_f64 v[172:173], v[156:157], s[10:11], v[172:173]
	v_fma_f64 v[217:218], v[156:157], s[44:45], v[174:175]
	;; [unrolled: 1-line block ×6, first 2 shown]
	v_add_f64 v[211:212], v[36:37], v[211:212]
	v_add_f64 v[148:149], v[148:149], v[58:59]
	v_mul_f64 v[201:202], v[154:155], s[16:17]
	v_mul_f64 v[205:206], v[154:155], s[24:25]
	;; [unrolled: 1-line block ×3, first 2 shown]
	v_fma_f64 v[160:161], v[144:145], s[36:37], v[176:177]
	v_fma_f64 v[176:177], v[144:145], s[6:7], v[176:177]
	;; [unrolled: 1-line block ×4, first 2 shown]
	v_add_f64 v[148:149], v[148:149], v[128:129]
	v_fma_f64 v[150:151], v[144:145], s[30:31], v[150:151]
	v_fma_f64 v[225:226], v[144:145], s[18:19], v[197:198]
	;; [unrolled: 1-line block ×7, first 2 shown]
	v_add_f64 v[148:149], v[148:149], v[132:133]
	v_fma_f64 v[231:232], v[142:143], s[46:47], v[203:204]
	v_add_f64 v[209:210], v[36:37], v[209:210]
	v_add_f64 v[152:153], v[36:37], v[152:153]
	;; [unrolled: 1-line block ×13, first 2 shown]
	v_fma_f64 v[158:159], v[142:143], s[34:35], v[201:202]
	v_add_f64 v[140:141], v[148:149], v[140:141]
	v_fma_f64 v[203:204], v[142:143], s[30:31], v[203:204]
	v_fma_f64 v[233:234], v[142:143], s[10:11], v[205:206]
	v_add_f64 v[148:149], v[160:161], v[209:210]
	v_add_f64 v[160:161], v[195:196], v[168:169]
	;; [unrolled: 1-line block ×8, first 2 shown]
	v_fma_f64 v[136:137], v[142:143], s[20:21], v[207:208]
	v_fma_f64 v[201:202], v[142:143], s[4:5], v[201:202]
	v_add_f64 v[152:153], v[176:177], v[152:153]
	v_add_f64 v[140:141], v[197:198], v[172:173]
	v_add_f64 v[172:173], v[227:228], v[217:218]
	v_add_f64 v[36:37], v[138:139], v[70:71]
	v_add_f64 v[70:71], v[231:232], v[156:157]
	v_fma_f64 v[138:139], v[142:143], s[38:39], v[205:206]
	v_mul_f64 v[156:157], v[154:155], s[22:23]
	v_mul_f64 v[154:155], v[154:155], s[28:29]
	v_add_f64 v[174:175], v[199:200], v[174:175]
	v_add_f64 v[176:177], v[229:230], v[219:220]
	;; [unrolled: 1-line block ×5, first 2 shown]
	v_fma_f64 v[168:169], v[142:143], s[42:43], v[207:208]
	v_add_f64 v[138:139], v[138:139], v[150:151]
	v_fma_f64 v[150:151], v[142:143], s[36:37], v[156:157]
	v_fma_f64 v[156:157], v[142:143], s[6:7], v[156:157]
	v_mul_f64 v[134:135], v[68:69], s[24:25]
	v_add_f64 v[136:137], v[136:137], v[170:171]
	v_fma_f64 v[170:171], v[142:143], s[44:45], v[154:155]
	v_add_f64 v[152:153], v[201:202], v[152:153]
	v_add_f64 v[140:141], v[168:169], v[140:141]
	v_mul_f64 v[168:169], v[68:69], s[28:29]
	v_add_f64 v[150:151], v[150:151], v[172:173]
	v_fma_f64 v[142:143], v[142:143], s[18:19], v[154:155]
	v_add_f64 v[154:155], v[156:157], v[174:175]
	v_fma_f64 v[156:157], v[66:67], s[38:39], v[134:135]
	v_mul_f64 v[172:173], v[68:69], s[26:27]
	v_add_f64 v[170:171], v[170:171], v[176:177]
	v_fma_f64 v[134:135], v[66:67], s[10:11], v[134:135]
	v_mul_f64 v[176:177], v[68:69], s[16:17]
	v_fma_f64 v[174:175], v[66:67], s[18:19], v[168:169]
	v_add_f64 v[142:143], v[142:143], v[144:145]
	v_fma_f64 v[144:145], v[66:67], s[44:45], v[168:169]
	v_add_f64 v[148:149], v[156:157], v[148:149]
	v_fma_f64 v[156:157], v[66:67], s[20:21], v[172:173]
	v_fma_f64 v[168:169], v[66:67], s[42:43], v[172:173]
	v_add_f64 v[134:135], v[134:135], v[152:153]
	v_fma_f64 v[152:153], v[66:67], s[34:35], v[176:177]
	v_mul_f64 v[172:173], v[68:69], s[40:41]
	v_mul_f64 v[68:69], v[68:69], s[22:23]
	v_add_f64 v[62:63], v[62:63], v[132:133]
	v_fma_f64 v[132:133], v[66:67], s[4:5], v[176:177]
	v_add_f64 v[144:145], v[144:145], v[158:159]
	v_add_f64 v[138:139], v[168:169], v[138:139]
	;; [unrolled: 1-line block ×4, first 2 shown]
	v_fma_f64 v[152:153], v[66:67], s[30:31], v[172:173]
	v_add_f64 v[156:157], v[156:157], v[160:161]
	v_fma_f64 v[158:159], v[66:67], s[46:47], v[172:173]
	v_fma_f64 v[160:161], v[66:67], s[6:7], v[68:69]
	v_mul_f64 v[130:131], v[62:63], s[28:29]
	v_add_f64 v[132:133], v[132:133], v[140:141]
	v_fma_f64 v[66:67], v[66:67], s[36:37], v[68:69]
	v_mul_f64 v[140:141], v[62:63], s[16:17]
	v_add_f64 v[68:69], v[152:153], v[150:151]
	v_add_f64 v[152:153], v[168:169], v[124:125]
	;; [unrolled: 1-line block ×4, first 2 shown]
	v_fma_f64 v[158:159], v[60:61], s[44:45], v[130:131]
	v_fma_f64 v[130:131], v[60:61], s[18:19], v[130:131]
	v_add_f64 v[66:67], v[66:67], v[142:143]
	v_fma_f64 v[142:143], v[60:61], s[4:5], v[140:141]
	v_fma_f64 v[140:141], v[60:61], s[34:35], v[140:141]
	v_add_f64 v[152:153], v[152:153], v[120:121]
	v_mul_f64 v[168:169], v[62:63], s[40:41]
	v_add_f64 v[154:155], v[160:161], v[170:171]
	v_mul_f64 v[160:161], v[62:63], s[22:23]
	v_add_f64 v[130:131], v[130:131], v[134:135]
	v_add_f64 v[58:59], v[58:59], v[128:129]
	;; [unrolled: 1-line block ×5, first 2 shown]
	v_fma_f64 v[142:143], v[60:61], s[30:31], v[168:169]
	v_mul_f64 v[144:145], v[62:63], s[26:27]
	v_fma_f64 v[128:129], v[60:61], s[46:47], v[168:169]
	v_add_f64 v[148:149], v[158:159], v[148:149]
	v_fma_f64 v[158:159], v[60:61], s[36:37], v[160:161]
	v_mul_f64 v[62:63], v[62:63], s[24:25]
	v_fma_f64 v[160:161], v[60:61], s[6:7], v[160:161]
	v_add_f64 v[140:141], v[140:141], v[92:93]
	v_add_f64 v[136:137], v[142:143], v[136:137]
	v_fma_f64 v[142:143], v[60:61], s[20:21], v[144:145]
	v_add_f64 v[128:129], v[128:129], v[132:133]
	v_fma_f64 v[144:145], v[60:61], s[42:43], v[144:145]
	v_add_f64 v[152:153], v[158:159], v[156:157]
	v_add_f64 v[56:57], v[56:57], -v[126:127]
	v_mul_f64 v[126:127], v[58:59], s[40:41]
	v_add_f64 v[132:133], v[140:141], v[86:87]
	v_fma_f64 v[156:157], v[60:61], s[38:39], v[62:63]
	v_fma_f64 v[60:61], v[60:61], s[10:11], v[62:63]
	v_add_f64 v[62:63], v[142:143], v[68:69]
	v_mul_f64 v[68:69], v[58:59], s[26:27]
	v_add_f64 v[140:141], v[144:145], v[150:151]
	v_mul_f64 v[150:151], v[58:59], s[28:29]
	v_fma_f64 v[142:143], v[56:57], s[46:47], v[126:127]
	v_add_f64 v[132:133], v[132:133], v[88:89]
	v_add_f64 v[138:139], v[160:161], v[138:139]
	;; [unrolled: 1-line block ×3, first 2 shown]
	v_fma_f64 v[66:67], v[56:57], s[30:31], v[126:127]
	v_fma_f64 v[126:127], v[56:57], s[20:21], v[68:69]
	v_add_f64 v[144:145], v[156:157], v[154:155]
	v_fma_f64 v[154:155], v[56:57], s[44:45], v[150:151]
	v_add_f64 v[142:143], v[142:143], v[148:149]
	v_add_f64 v[132:133], v[132:133], v[102:103]
	v_mul_f64 v[148:149], v[58:59], s[22:23]
	v_fma_f64 v[150:151], v[56:57], s[18:19], v[150:151]
	v_add_f64 v[38:39], v[38:39], v[50:51]
	v_add_f64 v[70:71], v[126:127], v[70:71]
	v_mul_f64 v[126:127], v[58:59], s[24:25]
	v_add_f64 v[66:67], v[66:67], v[130:131]
	v_mul_f64 v[58:59], v[58:59], s[16:17]
	v_add_f64 v[132:133], v[132:133], v[118:119]
	v_fma_f64 v[130:131], v[56:57], s[6:7], v[148:149]
	v_add_f64 v[138:139], v[150:151], v[138:139]
	v_fma_f64 v[148:149], v[56:57], s[36:37], v[148:149]
	v_add_f64 v[52:53], v[54:55], -v[52:53]
	v_fma_f64 v[150:151], v[56:57], s[38:39], v[126:127]
	v_fma_f64 v[126:127], v[56:57], s[10:11], v[126:127]
	v_mul_f64 v[54:55], v[38:39], s[26:27]
	v_add_f64 v[132:133], v[132:133], v[46:47]
	v_fma_f64 v[68:69], v[56:57], s[42:43], v[68:69]
	v_add_f64 v[130:131], v[130:131], v[136:137]
	v_add_f64 v[128:129], v[148:149], v[128:129]
	v_fma_f64 v[136:137], v[56:57], s[4:5], v[58:59]
	v_add_f64 v[62:63], v[150:151], v[62:63]
	;; [unrolled: 3-line block ×3, first 2 shown]
	v_mul_f64 v[148:149], v[38:39], s[16:17]
	v_mul_f64 v[150:151], v[38:39], s[28:29]
	v_add_f64 v[44:45], v[124:125], v[44:45]
	v_add_f64 v[68:69], v[68:69], v[134:135]
	;; [unrolled: 1-line block ×3, first 2 shown]
	v_fma_f64 v[56:57], v[56:57], s[34:35], v[58:59]
	v_mul_f64 v[58:59], v[38:39], s[22:23]
	v_add_f64 v[136:137], v[136:137], v[144:145]
	v_add_f64 v[50:51], v[132:133], v[50:51]
	;; [unrolled: 1-line block ×3, first 2 shown]
	v_fma_f64 v[140:141], v[52:53], s[34:35], v[148:149]
	v_mul_f64 v[144:145], v[38:39], s[24:25]
	v_mul_f64 v[38:39], v[38:39], s[40:41]
	v_fma_f64 v[152:153], v[52:53], s[44:45], v[150:151]
	v_add_f64 v[40:41], v[122:123], -v[40:41]
	v_mul_f64 v[122:123], v[44:45], s[22:23]
	v_fma_f64 v[54:55], v[52:53], s[20:21], v[54:55]
	v_add_f64 v[56:57], v[56:57], v[60:61]
	v_fma_f64 v[60:61], v[52:53], s[36:37], v[58:59]
	v_fma_f64 v[58:59], v[52:53], s[6:7], v[58:59]
	;; [unrolled: 1-line block ×3, first 2 shown]
	v_add_f64 v[124:125], v[146:147], v[140:141]
	v_fma_f64 v[140:141], v[52:53], s[38:39], v[144:145]
	v_fma_f64 v[144:145], v[52:53], s[10:11], v[144:145]
	;; [unrolled: 1-line block ×3, first 2 shown]
	v_mul_f64 v[154:155], v[44:45], s[24:25]
	v_fma_f64 v[156:157], v[52:53], s[46:47], v[38:39]
	v_fma_f64 v[38:39], v[52:53], s[30:31], v[38:39]
	v_add_f64 v[52:53], v[146:147], v[152:153]
	v_fma_f64 v[152:153], v[40:41], s[36:37], v[122:123]
	v_add_f64 v[54:55], v[146:147], v[54:55]
	v_add_f64 v[60:61], v[146:147], v[60:61]
	;; [unrolled: 1-line block ×7, first 2 shown]
	v_mul_f64 v[158:159], v[44:45], s[40:41]
	v_fma_f64 v[122:123], v[40:41], s[6:7], v[122:123]
	v_add_f64 v[156:157], v[146:147], v[156:157]
	v_add_f64 v[38:39], v[146:147], v[38:39]
	v_fma_f64 v[146:147], v[40:41], s[10:11], v[154:155]
	v_add_f64 v[132:133], v[152:153], v[132:133]
	v_mul_f64 v[152:153], v[44:45], s[28:29]
	v_fma_f64 v[160:161], v[40:41], s[38:39], v[154:155]
	v_fma_f64 v[154:155], v[40:41], s[46:47], v[158:159]
	v_add_f64 v[54:55], v[122:123], v[54:55]
	v_fma_f64 v[122:123], v[40:41], s[30:31], v[158:159]
	v_mul_f64 v[158:159], v[44:45], s[16:17]
	v_add_f64 v[58:59], v[146:147], v[58:59]
	v_add_f64 v[46:47], v[120:121], v[46:47]
	v_fma_f64 v[120:121], v[40:41], s[18:19], v[152:153]
	v_fma_f64 v[146:147], v[40:41], s[44:45], v[152:153]
	v_mul_f64 v[44:45], v[44:45], s[26:27]
	v_add_f64 v[42:43], v[116:117], -v[42:43]
	v_add_f64 v[122:123], v[122:123], v[148:149]
	v_fma_f64 v[148:149], v[40:41], s[4:5], v[158:159]
	v_add_f64 v[124:125], v[154:155], v[124:125]
	v_mul_f64 v[116:117], v[46:47], s[16:17]
	v_add_f64 v[120:121], v[120:121], v[140:141]
	v_fma_f64 v[140:141], v[40:41], s[34:35], v[158:159]
	v_add_f64 v[144:145], v[146:147], v[144:145]
	v_fma_f64 v[146:147], v[40:41], s[20:21], v[44:45]
	v_mul_f64 v[152:153], v[46:47], s[40:41]
	v_fma_f64 v[40:41], v[40:41], s[42:43], v[44:45]
	v_add_f64 v[44:45], v[148:149], v[52:53]
	v_fma_f64 v[52:53], v[42:43], s[34:35], v[116:117]
	v_mul_f64 v[148:149], v[46:47], s[24:25]
	v_add_f64 v[140:141], v[140:141], v[150:151]
	v_fma_f64 v[116:117], v[42:43], s[4:5], v[116:117]
	v_add_f64 v[106:107], v[106:107], -v[114:115]
	v_fma_f64 v[150:151], v[42:43], s[46:47], v[152:153]
	v_add_f64 v[38:39], v[40:41], v[38:39]
	v_fma_f64 v[40:41], v[42:43], s[30:31], v[152:153]
	v_add_f64 v[52:53], v[52:53], v[132:133]
	v_fma_f64 v[132:133], v[42:43], s[10:11], v[148:149]
	v_mul_f64 v[152:153], v[46:47], s[26:27]
	v_add_f64 v[54:55], v[116:117], v[54:55]
	v_fma_f64 v[116:117], v[42:43], s[38:39], v[148:149]
	v_mul_f64 v[148:149], v[46:47], s[22:23]
	v_mul_f64 v[46:47], v[46:47], s[28:29]
	v_add_f64 v[40:41], v[40:41], v[58:59]
	v_add_f64 v[58:59], v[110:111], v[118:119]
	;; [unrolled: 1-line block ×3, first 2 shown]
	v_fma_f64 v[118:119], v[42:43], s[20:21], v[152:153]
	v_fma_f64 v[124:125], v[42:43], s[42:43], v[152:153]
	v_add_f64 v[116:117], v[116:117], v[122:123]
	v_fma_f64 v[122:123], v[42:43], s[36:37], v[148:149]
	v_fma_f64 v[132:133], v[42:43], s[6:7], v[148:149]
	v_add_f64 v[90:91], v[90:91], -v[96:97]
	v_mul_f64 v[114:115], v[58:59], s[24:25]
	v_add_f64 v[60:61], v[160:161], v[60:61]
	v_add_f64 v[118:119], v[118:119], v[120:121]
	;; [unrolled: 1-line block ×3, first 2 shown]
	v_mul_f64 v[124:125], v[58:59], s[28:29]
	v_fma_f64 v[144:145], v[42:43], s[44:45], v[46:47]
	v_fma_f64 v[42:43], v[42:43], s[18:19], v[46:47]
	v_add_f64 v[44:45], v[122:123], v[44:45]
	v_fma_f64 v[46:47], v[106:107], s[38:39], v[114:115]
	v_add_f64 v[122:123], v[132:133], v[140:141]
	v_mul_f64 v[132:133], v[58:59], s[26:27]
	v_fma_f64 v[114:115], v[106:107], s[10:11], v[114:115]
	v_fma_f64 v[140:141], v[106:107], s[18:19], v[124:125]
	v_add_f64 v[146:147], v[146:147], v[156:157]
	v_add_f64 v[38:39], v[42:43], v[38:39]
	v_fma_f64 v[42:43], v[106:107], s[44:45], v[124:125]
	v_add_f64 v[46:47], v[46:47], v[52:53]
	v_mul_f64 v[52:53], v[58:59], s[16:17]
	v_fma_f64 v[124:125], v[106:107], s[20:21], v[132:133]
	v_add_f64 v[54:55], v[114:115], v[54:55]
	v_fma_f64 v[114:115], v[106:107], s[42:43], v[132:133]
	v_mul_f64 v[132:133], v[58:59], s[40:41]
	v_mul_f64 v[58:59], v[58:59], s[22:23]
	v_add_f64 v[40:41], v[42:43], v[40:41]
	v_add_f64 v[42:43], v[92:93], v[102:103]
	v_fma_f64 v[92:93], v[106:107], s[34:35], v[52:53]
	v_fma_f64 v[52:53], v[106:107], s[4:5], v[52:53]
	v_add_f64 v[102:103], v[124:125], v[110:111]
	v_add_f64 v[110:111], v[114:115], v[116:117]
	v_fma_f64 v[114:115], v[106:107], s[30:31], v[132:133]
	v_fma_f64 v[116:117], v[106:107], s[46:47], v[132:133]
	v_add_f64 v[60:61], v[150:151], v[60:61]
	v_mul_f64 v[96:97], v[42:43], s[28:29]
	v_add_f64 v[92:93], v[92:93], v[118:119]
	v_add_f64 v[52:53], v[52:53], v[120:121]
	v_fma_f64 v[118:119], v[106:107], s[6:7], v[58:59]
	v_mul_f64 v[120:121], v[42:43], s[16:17]
	v_fma_f64 v[58:59], v[106:107], s[36:37], v[58:59]
	v_add_f64 v[44:45], v[114:115], v[44:45]
	v_mul_f64 v[114:115], v[42:43], s[22:23]
	v_fma_f64 v[106:107], v[90:91], s[44:45], v[96:97]
	v_fma_f64 v[96:97], v[90:91], s[18:19], v[96:97]
	v_add_f64 v[116:117], v[116:117], v[122:123]
	v_add_f64 v[144:145], v[144:145], v[146:147]
	v_fma_f64 v[122:123], v[90:91], s[4:5], v[120:121]
	v_add_f64 v[38:39], v[58:59], v[38:39]
	v_fma_f64 v[58:59], v[90:91], s[34:35], v[120:121]
	v_mul_f64 v[120:121], v[42:43], s[40:41]
	v_add_f64 v[46:47], v[106:107], v[46:47]
	v_add_f64 v[54:55], v[96:97], v[54:55]
	v_fma_f64 v[96:97], v[90:91], s[6:7], v[114:115]
	v_fma_f64 v[106:107], v[90:91], s[36:37], v[114:115]
	v_mul_f64 v[114:115], v[42:43], s[26:27]
	v_mul_f64 v[42:43], v[42:43], s[24:25]
	v_add_f64 v[40:41], v[58:59], v[40:41]
	v_add_f64 v[58:59], v[86:87], v[88:89]
	v_fma_f64 v[88:89], v[90:91], s[30:31], v[120:121]
	v_add_f64 v[60:61], v[140:141], v[60:61]
	v_add_f64 v[96:97], v[96:97], v[110:111]
	v_add_f64 v[110:111], v[82:83], -v[84:85]
	v_add_f64 v[86:87], v[106:107], v[102:103]
	v_fma_f64 v[102:103], v[90:91], s[46:47], v[120:121]
	v_fma_f64 v[106:107], v[90:91], s[20:21], v[114:115]
	v_mul_f64 v[82:83], v[58:59], s[40:41]
	v_fma_f64 v[84:85], v[90:91], s[42:43], v[114:115]
	v_add_f64 v[88:89], v[88:89], v[92:93]
	v_fma_f64 v[92:93], v[90:91], s[38:39], v[42:43]
	v_mul_f64 v[114:115], v[58:59], s[26:27]
	v_fma_f64 v[42:43], v[90:91], s[10:11], v[42:43]
	v_add_f64 v[118:119], v[118:119], v[144:145]
	v_add_f64 v[60:61], v[122:123], v[60:61]
	v_fma_f64 v[90:91], v[110:111], s[46:47], v[82:83]
	v_fma_f64 v[82:83], v[110:111], s[30:31], v[82:83]
	v_add_f64 v[52:53], v[102:103], v[52:53]
	v_add_f64 v[44:45], v[106:107], v[44:45]
	;; [unrolled: 1-line block ×3, first 2 shown]
	v_fma_f64 v[106:107], v[110:111], s[20:21], v[114:115]
	v_add_f64 v[38:39], v[42:43], v[38:39]
	v_fma_f64 v[42:43], v[110:111], s[42:43], v[114:115]
	v_mul_f64 v[114:115], v[58:59], s[28:29]
	v_add_f64 v[46:47], v[90:91], v[46:47]
	v_mul_f64 v[90:91], v[58:59], s[22:23]
	v_add_f64 v[84:85], v[82:83], v[54:55]
	v_mul_f64 v[54:55], v[58:59], s[24:25]
	v_mul_f64 v[58:59], v[58:59], s[16:17]
	v_add_f64 v[92:93], v[92:93], v[118:119]
	v_add_f64 v[60:61], v[106:107], v[60:61]
	;; [unrolled: 1-line block ×3, first 2 shown]
	v_fma_f64 v[40:41], v[110:111], s[44:45], v[114:115]
	v_fma_f64 v[42:43], v[110:111], s[18:19], v[114:115]
	;; [unrolled: 1-line block ×8, first 2 shown]
	v_add_f64 v[40:41], v[40:41], v[86:87]
	v_add_f64 v[42:43], v[42:43], v[96:97]
	;; [unrolled: 1-line block ×8, first 2 shown]
	s_waitcnt lgkmcnt(0)
	; wave barrier
	s_waitcnt lgkmcnt(0)
	ds_write2_b64 v48, v[36:37], v[142:143] offset1:26
	ds_write2_b64 v48, v[70:71], v[134:135] offset0:52 offset1:78
	ds_write2_b64 v48, v[130:131], v[62:63] offset0:104 offset1:130
	;; [unrolled: 1-line block ×5, first 2 shown]
	ds_write_b64 v48, v[66:67] offset:2496
	ds_write2_b64 v64, v[50:51], v[46:47] offset1:26
	ds_write2_b64 v64, v[60:61], v[40:41] offset0:52 offset1:78
	ds_write2_b64 v64, v[86:87], v[44:45] offset0:104 offset1:130
	;; [unrolled: 1-line block ×5, first 2 shown]
	ds_write_b64 v64, v[84:85] offset:2496
	v_add_u32_e32 v36, v186, v167
	v_add_u32_e32 v37, v187, v166
	s_waitcnt lgkmcnt(0)
	; wave barrier
	s_waitcnt lgkmcnt(0)
	ds_read2_b64 v[44:47], v194 offset0:82 offset1:134
	ds_read2_b64 v[52:55], v189 offset0:164 offset1:216
	;; [unrolled: 1-line block ×6, first 2 shown]
	ds_read_b64 v[102:103], v36
	ds_read_b64 v[110:111], v37
	ds_read2_b64 v[40:43], v189 offset0:34 offset1:86
	ds_read2_b64 v[68:71], v190 offset0:116 offset1:168
	;; [unrolled: 1-line block ×3, first 2 shown]
	ds_read_b64 v[92:93], v188
	ds_read_b64 v[96:97], v192
	;; [unrolled: 1-line block ×4, first 2 shown]
                                        ; implicit-def: $vgpr86_vgpr87
                                        ; implicit-def: $vgpr88_vgpr89
	s_and_saveexec_b64 s[2:3], s[0:1]
	s_cbranch_execz .LBB0_17
; %bb.16:
	ds_read_b64 v[84:85], v188 offset:5200
	ds_read_b64 v[86:87], v188 offset:7904
	ds_read_b64 v[82:83], v165
	ds_read_b64 v[88:89], v188 offset:10608
	v_mov_b32_e32 v162, v184
.LBB0_17:
	s_or_b64 exec, exec, s[2:3]
	s_and_saveexec_b64 s[2:3], vcc
	s_cbranch_execz .LBB0_20
; %bb.18:
	v_mul_i32_i24_e32 v90, 3, v183
	v_mov_b32_e32 v91, 0
	v_lshlrev_b64 v[116:117], 4, v[90:91]
	v_mov_b32_e32 v175, s9
	v_add_co_u32_e32 v90, vcc, s8, v116
	v_addc_co_u32_e32 v117, vcc, v175, v117, vcc
	v_add_co_u32_e32 v124, vcc, 0x1500, v90
	v_addc_co_u32_e32 v125, vcc, 0, v117, vcc
	;; [unrolled: 2-line block ×3, first 2 shown]
	global_load_dwordx4 v[116:119], v[116:117], off offset:1280
	s_nop 0
	global_load_dwordx4 v[120:123], v[124:125], off offset:32
	s_nop 0
	global_load_dwordx4 v[124:127], v[124:125], off offset:16
	v_mul_i32_i24_e32 v90, 3, v182
	v_lshlrev_b64 v[128:129], 4, v[90:91]
	s_movk_i32 s3, 0x1500
	v_add_co_u32_e32 v90, vcc, s8, v128
	v_addc_co_u32_e32 v129, vcc, v175, v129, vcc
	v_add_co_u32_e32 v136, vcc, s3, v90
	s_movk_i32 s2, 0x1000
	v_addc_co_u32_e32 v137, vcc, 0, v129, vcc
	v_add_co_u32_e32 v128, vcc, s2, v90
	v_addc_co_u32_e32 v129, vcc, 0, v129, vcc
	global_load_dwordx4 v[128:131], v[128:129], off offset:1280
	s_nop 0
	global_load_dwordx4 v[132:135], v[136:137], off offset:32
	s_nop 0
	global_load_dwordx4 v[136:139], v[136:137], off offset:16
	v_mul_i32_i24_e32 v90, 3, v181
	v_lshlrev_b64 v[140:141], 4, v[90:91]
	v_mul_i32_i24_e32 v90, 3, v180
	v_add_co_u32_e32 v140, vcc, s8, v140
	v_addc_co_u32_e32 v141, vcc, v175, v141, vcc
	v_add_co_u32_e32 v144, vcc, s3, v140
	v_addc_co_u32_e32 v145, vcc, 0, v141, vcc
	;; [unrolled: 2-line block ×3, first 2 shown]
	v_lshlrev_b64 v[152:153], 4, v[90:91]
	global_load_dwordx4 v[140:143], v[144:145], off offset:32
	s_nop 0
	global_load_dwordx4 v[144:147], v[144:145], off offset:16
	s_nop 0
	global_load_dwordx4 v[148:151], v[148:149], off offset:1280
	v_mul_i32_i24_e32 v90, 3, v185
	v_lshlrev_b64 v[154:155], 4, v[90:91]
	v_add_co_u32_e32 v90, vcc, s8, v152
	v_addc_co_u32_e32 v153, vcc, v175, v153, vcc
	v_add_co_u32_e32 v160, vcc, s3, v90
	v_addc_co_u32_e32 v161, vcc, 0, v153, vcc
	;; [unrolled: 2-line block ×4, first 2 shown]
	global_load_dwordx4 v[152:155], v[152:153], off offset:1280
	s_nop 0
	global_load_dwordx4 v[156:159], v[160:161], off offset:32
	global_load_dwordx4 v[163:166], v[160:161], off offset:16
	s_mov_b32 s6, 0x60f25deb
	s_waitcnt vmcnt(11)
	v_mul_f64 v[169:170], v[34:35], v[118:119]
	s_waitcnt vmcnt(10) lgkmcnt(4)
	v_mul_f64 v[167:168], v[38:39], v[122:123]
	s_waitcnt vmcnt(9)
	v_mul_f64 v[160:161], v[26:27], v[126:127]
	v_mul_f64 v[122:123], v[30:31], v[122:123]
	;; [unrolled: 1-line block ×4, first 2 shown]
	v_fma_f64 v[42:43], v[42:43], v[116:117], -v[169:170]
	v_fma_f64 v[30:31], v[30:31], v[120:121], v[167:168]
	v_fma_f64 v[70:71], v[70:71], v[124:125], -v[160:161]
	v_fma_f64 v[38:39], v[38:39], v[120:121], -v[122:123]
	v_fma_f64 v[26:27], v[26:27], v[124:125], v[126:127]
	v_fma_f64 v[34:35], v[34:35], v[116:117], v[118:119]
	s_waitcnt vmcnt(8)
	v_mul_f64 v[171:172], v[40:41], v[130:131]
	s_waitcnt vmcnt(7)
	v_mul_f64 v[173:174], v[36:37], v[134:135]
	v_mul_f64 v[130:131], v[32:33], v[130:131]
	v_add_f64 v[38:39], v[42:43], -v[38:39]
	s_waitcnt vmcnt(6)
	v_mul_f64 v[122:123], v[24:25], v[138:139]
	v_mul_f64 v[138:139], v[68:69], v[138:139]
	v_add_f64 v[30:31], v[34:35], -v[30:31]
	v_mul_f64 v[134:135], v[28:29], v[134:135]
	v_fma_f64 v[160:161], v[32:33], v[128:129], v[171:172]
	s_waitcnt lgkmcnt(0)
	v_add_f64 v[32:33], v[114:115], -v[70:71]
	v_add_f64 v[70:71], v[108:109], -v[26:27]
	v_fma_f64 v[28:29], v[28:29], v[132:133], v[173:174]
	v_fma_f64 v[42:43], v[42:43], 2.0, -v[38:39]
	v_fma_f64 v[68:69], v[68:69], v[136:137], -v[122:123]
	v_fma_f64 v[116:117], v[24:25], v[136:137], v[138:139]
	v_fma_f64 v[36:37], v[36:37], v[132:133], -v[134:135]
	v_fma_f64 v[40:41], v[40:41], v[128:129], -v[130:131]
	v_fma_f64 v[114:115], v[114:115], 2.0, -v[32:33]
	v_add_f64 v[26:27], v[32:33], -v[30:31]
	v_add_f64 v[24:25], v[70:71], v[38:39]
	v_add_f64 v[134:135], v[160:161], -v[28:29]
	v_fma_f64 v[28:29], v[34:35], 2.0, -v[30:31]
	v_add_f64 v[136:137], v[110:111], -v[68:69]
	v_add_co_u32_e32 v68, vcc, s3, v90
	v_add_f64 v[30:31], v[114:115], -v[42:43]
	v_addc_co_u32_e32 v69, vcc, 0, v176, vcc
	v_fma_f64 v[138:139], v[108:109], 2.0, -v[70:71]
	v_fma_f64 v[34:35], v[32:33], 2.0, -v[26:27]
	;; [unrolled: 1-line block ×3, first 2 shown]
	v_add_co_u32_e32 v70, vcc, s2, v90
	v_add_f64 v[167:168], v[72:73], -v[116:117]
	v_fma_f64 v[38:39], v[114:115], 2.0, -v[30:31]
	v_addc_co_u32_e32 v71, vcc, 0, v176, vcc
	global_load_dwordx4 v[114:117], v[68:69], off offset:32
	global_load_dwordx4 v[118:121], v[68:69], off offset:16
	;; [unrolled: 1-line block ×3, first 2 shown]
	v_mul_u32_u24_e32 v90, 3, v178
	v_lshlrev_b32_e32 v90, 4, v90
	v_add_co_u32_e32 v90, vcc, s8, v90
	v_addc_co_u32_e32 v108, vcc, 0, v175, vcc
	v_add_co_u32_e32 v130, vcc, s3, v90
	v_addc_co_u32_e32 v131, vcc, 0, v108, vcc
	;; [unrolled: 2-line block ×3, first 2 shown]
	v_fma_f64 v[169:170], v[110:111], 2.0, -v[136:137]
	global_load_dwordx4 v[108:111], v[130:131], off offset:16
	s_nop 0
	global_load_dwordx4 v[126:129], v[126:127], off offset:1280
	s_nop 0
	global_load_dwordx4 v[130:133], v[130:131], off offset:32
	s_waitcnt vmcnt(9)
	v_mul_f64 v[70:71], v[58:59], v[150:151]
	v_mul_f64 v[171:172], v[62:63], v[142:143]
	;; [unrolled: 1-line block ×4, first 2 shown]
	v_add_f64 v[36:37], v[40:41], -v[36:37]
	v_mul_f64 v[68:69], v[14:15], v[146:147]
	v_add_f64 v[42:43], v[136:137], -v[134:135]
	v_add_f64 v[28:29], v[138:139], -v[28:29]
	v_fma_f64 v[175:176], v[18:19], v[148:149], v[70:71]
	v_fma_f64 v[18:19], v[22:23], v[140:141], v[171:172]
	v_mul_f64 v[22:23], v[66:67], v[146:147]
	v_fma_f64 v[58:59], v[58:59], v[148:149], -v[150:151]
	v_fma_f64 v[62:63], v[62:63], v[140:141], -v[142:143]
	v_fma_f64 v[173:174], v[40:41], 2.0, -v[36:37]
	v_add_f64 v[40:41], v[167:168], v[36:37]
	v_fma_f64 v[36:37], v[66:67], v[144:145], -v[68:69]
	v_fma_f64 v[140:141], v[72:73], 2.0, -v[167:168]
	v_fma_f64 v[66:67], v[160:161], 2.0, -v[134:135]
	v_fma_f64 v[22:23], v[14:15], v[144:145], v[22:23]
	v_add_f64 v[142:143], v[175:176], -v[18:19]
	v_add_f64 v[62:63], v[58:59], -v[62:63]
	v_fma_f64 v[72:73], v[136:137], 2.0, -v[42:43]
	s_waitcnt vmcnt(7)
	v_mul_f64 v[144:145], v[60:61], v[158:159]
	v_add_f64 v[134:135], v[106:107], -v[36:37]
	v_fma_f64 v[36:37], v[138:139], 2.0, -v[28:29]
	v_mul_f64 v[138:139], v[56:57], v[154:155]
	v_add_f64 v[136:137], v[104:105], -v[22:23]
	v_mul_f64 v[146:147], v[16:17], v[154:155]
	v_fma_f64 v[22:23], v[58:59], 2.0, -v[62:63]
	s_waitcnt vmcnt(6)
	v_mul_f64 v[58:59], v[12:13], v[165:166]
	v_mul_f64 v[148:149], v[20:21], v[158:159]
	;; [unrolled: 1-line block ×3, first 2 shown]
	v_add_f64 v[66:67], v[140:141], -v[66:67]
	v_add_f64 v[18:19], v[134:135], -v[142:143]
	v_fma_f64 v[106:107], v[106:107], 2.0, -v[134:135]
	v_fma_f64 v[104:105], v[104:105], 2.0, -v[136:137]
	;; [unrolled: 1-line block ×3, first 2 shown]
	v_fma_f64 v[58:59], v[64:65], v[163:164], -v[58:59]
	v_fma_f64 v[64:65], v[16:17], v[152:153], v[138:139]
	v_fma_f64 v[138:139], v[20:21], v[156:157], v[144:145]
	v_fma_f64 v[144:145], v[56:57], v[152:153], -v[146:147]
	v_fma_f64 v[56:57], v[60:61], v[156:157], -v[148:149]
	v_fma_f64 v[60:61], v[12:13], v[163:164], v[150:151]
	v_add_f64 v[22:23], v[106:107], -v[22:23]
	v_add_f64 v[20:21], v[104:105], -v[142:143]
	;; [unrolled: 1-line block ×3, first 2 shown]
	v_fma_f64 v[12:13], v[140:141], 2.0, -v[66:67]
	v_add_f64 v[138:139], v[64:65], -v[138:139]
	v_add_f64 v[16:17], v[136:137], v[62:63]
	v_add_f64 v[140:141], v[144:145], -v[56:57]
	v_add_f64 v[146:147], v[100:101], -v[60:61]
	v_fma_f64 v[58:59], v[134:135], 2.0, -v[18:19]
	v_fma_f64 v[62:63], v[106:107], 2.0, -v[22:23]
	;; [unrolled: 1-line block ×4, first 2 shown]
	v_add_f64 v[104:105], v[142:143], -v[138:139]
	v_fma_f64 v[64:65], v[64:65], 2.0, -v[138:139]
	v_fma_f64 v[134:135], v[144:145], 2.0, -v[140:141]
	;; [unrolled: 1-line block ×4, first 2 shown]
	v_add_f64 v[102:103], v[146:147], v[140:141]
	s_waitcnt vmcnt(5)
	v_mul_f64 v[150:151], v[50:51], v[116:117]
	s_waitcnt vmcnt(4)
	v_mul_f64 v[144:145], v[2:3], v[120:121]
	;; [unrolled: 2-line block ×3, first 2 shown]
	v_fma_f64 v[136:137], v[142:143], 2.0, -v[104:105]
	v_mul_f64 v[120:121], v[54:55], v[120:121]
	v_add_f64 v[140:141], v[106:107], -v[134:135]
	v_add_f64 v[138:139], v[100:101], -v[64:65]
	v_add_u32_e32 v90, 0x152, v178
	v_fma_f64 v[142:143], v[6:7], v[114:115], v[150:151]
	v_mul_f64 v[6:7], v[6:7], v[116:117]
	v_fma_f64 v[64:65], v[10:11], v[122:123], v[148:149]
	v_mul_f64 v[10:11], v[10:11], v[124:125]
	v_fma_f64 v[54:55], v[54:55], v[118:119], -v[144:145]
	v_fma_f64 v[2:3], v[2:3], v[118:119], v[120:121]
	v_fma_f64 v[118:119], v[106:107], 2.0, -v[140:141]
	v_fma_f64 v[116:117], v[100:101], 2.0, -v[138:139]
	;; [unrolled: 1-line block ×3, first 2 shown]
	v_fma_f64 v[6:7], v[50:51], v[114:115], -v[6:7]
	s_waitcnt vmcnt(1)
	v_mul_f64 v[50:51], v[8:9], v[128:129]
	v_fma_f64 v[10:11], v[46:47], v[122:123], -v[10:11]
	v_mul_f64 v[46:47], v[0:1], v[110:111]
	s_waitcnt vmcnt(0)
	v_mul_f64 v[106:107], v[4:5], v[132:133]
	v_mul_f64 v[8:9], v[8:9], v[126:127]
	v_mul_f64 v[110:111], v[52:53], v[110:111]
	v_mul_f64 v[114:115], v[48:49], v[132:133]
	v_add_f64 v[54:55], v[96:97], -v[54:55]
	v_add_f64 v[2:3], v[98:99], -v[2:3]
	;; [unrolled: 1-line block ×3, first 2 shown]
	v_fma_f64 v[46:47], v[52:53], v[108:109], -v[46:47]
	v_fma_f64 v[50:51], v[44:45], v[126:127], -v[50:51]
	;; [unrolled: 1-line block ×3, first 2 shown]
	v_fma_f64 v[44:45], v[44:45], v[128:129], v[8:9]
	v_fma_f64 v[0:1], v[0:1], v[108:109], v[110:111]
	;; [unrolled: 1-line block ×3, first 2 shown]
	v_add_f64 v[100:101], v[64:65], -v[142:143]
	v_add_f64 v[4:5], v[2:3], v[120:121]
	v_fma_f64 v[52:53], v[96:97], 2.0, -v[54:55]
	v_fma_f64 v[96:97], v[10:11], 2.0, -v[120:121]
	v_add_f64 v[106:107], v[92:93], -v[46:47]
	v_add_f64 v[48:49], v[50:51], -v[48:49]
	;; [unrolled: 1-line block ×4, first 2 shown]
	v_fma_f64 v[98:99], v[98:99], 2.0, -v[2:3]
	v_fma_f64 v[64:65], v[64:65], 2.0, -v[100:101]
	v_add_f64 v[6:7], v[54:55], -v[100:101]
	v_add_f64 v[46:47], v[52:53], -v[96:97]
	v_fma_f64 v[100:101], v[92:93], 2.0, -v[106:107]
	v_fma_f64 v[92:93], v[50:51], 2.0, -v[48:49]
	;; [unrolled: 1-line block ×5, first 2 shown]
	v_add_f64 v[44:45], v[98:99], -v[64:65]
	v_mad_u64_u32 v[64:65], s[4:5], s12, v178, 0
	v_add_f64 v[50:51], v[106:107], -v[108:109]
	v_add_f64 v[94:95], v[100:101], -v[92:93]
	v_mad_u64_u32 v[110:111], s[4:5], s13, v178, v[65:66]
	v_add_f64 v[92:93], v[2:3], -v[96:97]
	v_add_f64 v[48:49], v[0:1], v[48:49]
	v_mov_b32_e32 v65, v110
	v_fma_f64 v[10:11], v[54:55], 2.0, -v[6:7]
	v_fma_f64 v[54:55], v[52:53], 2.0, -v[46:47]
	;; [unrolled: 1-line block ×6, first 2 shown]
	v_lshlrev_b64 v[2:3], 4, v[64:65]
	v_mad_u64_u32 v[64:65], s[4:5], s12, v90, 0
	v_fma_f64 v[96:97], v[0:1], 2.0, -v[48:49]
	v_mov_b32_e32 v1, s15
	v_mad_u64_u32 v[100:101], s[4:5], s13, v90, v[65:66]
	v_add_u32_e32 v90, 0x2a4, v178
	v_add_co_u32_e32 v0, vcc, s14, v112
	v_mad_u64_u32 v[110:111], s[4:5], s12, v90, 0
	v_addc_co_u32_e32 v1, vcc, v1, v113, vcc
	v_add_co_u32_e32 v2, vcc, v0, v2
	v_addc_co_u32_e32 v3, vcc, v1, v3, vcc
	v_mov_b32_e32 v65, v100
	global_store_dwordx4 v[2:3], v[106:109], off
	v_lshlrev_b64 v[2:3], 4, v[64:65]
	v_mov_b32_e32 v64, v111
	v_mad_u64_u32 v[64:65], s[4:5], s13, v90, v[64:65]
	v_add_co_u32_e32 v2, vcc, v0, v2
	v_addc_co_u32_e32 v3, vcc, v1, v3, vcc
	v_mov_b32_e32 v111, v64
	v_add_u32_e32 v90, 0x3f6, v178
	global_store_dwordx4 v[2:3], v[96:99], off
	v_lshlrev_b64 v[2:3], 4, v[110:111]
	v_mad_u64_u32 v[64:65], s[4:5], s12, v90, 0
	v_add_co_u32_e32 v2, vcc, v0, v2
	v_addc_co_u32_e32 v3, vcc, v1, v3, vcc
	global_store_dwordx4 v[2:3], v[92:95], off
	v_mov_b32_e32 v2, v65
	v_mad_u64_u32 v[2:3], s[4:5], s13, v90, v[2:3]
	v_mad_u64_u32 v[92:93], s[4:5], s12, v179, 0
	v_mov_b32_e32 v65, v2
	v_lshlrev_b64 v[2:3], 4, v[64:65]
	v_mov_b32_e32 v64, v93
	v_add_co_u32_e32 v2, vcc, v0, v2
	v_addc_co_u32_e32 v3, vcc, v1, v3, vcc
	v_mad_u64_u32 v[64:65], s[4:5], s13, v179, v[64:65]
	global_store_dwordx4 v[2:3], v[48:51], off
	s_movk_i32 s3, 0x3f6
	v_add_u32_e32 v50, 0x186, v178
	v_mad_u64_u32 v[48:49], s[4:5], s12, v50, 0
	v_mov_b32_e32 v93, v64
	v_lshlrev_b64 v[2:3], 4, v[92:93]
	v_mad_u64_u32 v[49:50], s[4:5], s13, v50, v[49:50]
	v_add_co_u32_e32 v2, vcc, v0, v2
	v_add_u32_e32 v64, 0x2d8, v178
	v_addc_co_u32_e32 v3, vcc, v1, v3, vcc
	v_mad_u64_u32 v[50:51], s[4:5], s12, v64, 0
	global_store_dwordx4 v[2:3], v[52:55], off
	v_lshlrev_b64 v[2:3], 4, v[48:49]
	v_mov_b32_e32 v48, v51
	v_add_co_u32_e32 v2, vcc, v0, v2
	v_addc_co_u32_e32 v3, vcc, v1, v3, vcc
	v_mad_u64_u32 v[48:49], s[4:5], s13, v64, v[48:49]
	global_store_dwordx4 v[2:3], v[8:11], off
	v_add_f64 v[68:69], v[169:170], -v[173:174]
	v_add_u32_e32 v10, 0x42a, v178
	v_mad_u64_u32 v[8:9], s[4:5], s12, v10, 0
	v_mov_b32_e32 v51, v48
	v_lshlrev_b64 v[2:3], 4, v[50:51]
	v_mad_u64_u32 v[9:10], s[4:5], s13, v10, v[9:10]
	v_add_co_u32_e32 v2, vcc, v0, v2
	v_addc_co_u32_e32 v3, vcc, v1, v3, vcc
	v_add_u32_e32 v48, 0x68, v178
	v_mad_u64_u32 v[10:11], s[4:5], s12, v48, 0
	global_store_dwordx4 v[2:3], v[44:47], off
	v_lshlrev_b64 v[2:3], 4, v[8:9]
	v_mov_b32_e32 v8, v11
	v_add_co_u32_e32 v2, vcc, v0, v2
	v_addc_co_u32_e32 v3, vcc, v1, v3, vcc
	global_store_dwordx4 v[2:3], v[4:7], off
	v_mad_u64_u32 v[8:9], s[4:5], s13, v48, v[8:9]
	v_add_u32_e32 v6, 0x1ba, v178
	v_mad_u64_u32 v[4:5], s[4:5], s12, v6, 0
	v_mov_b32_e32 v11, v8
	v_add_u32_e32 v8, 0x30c, v178
	v_mad_u64_u32 v[5:6], s[4:5], s13, v6, v[5:6]
	v_lshlrev_b64 v[2:3], 4, v[10:11]
	v_mad_u64_u32 v[6:7], s[4:5], s12, v8, 0
	v_add_co_u32_e32 v2, vcc, v0, v2
	v_addc_co_u32_e32 v3, vcc, v1, v3, vcc
	global_store_dwordx4 v[2:3], v[116:119], off
	v_lshlrev_b64 v[2:3], 4, v[4:5]
	v_mov_b32_e32 v4, v7
	v_mad_u64_u32 v[4:5], s[4:5], s13, v8, v[4:5]
	v_add_co_u32_e32 v2, vcc, v0, v2
	v_addc_co_u32_e32 v3, vcc, v1, v3, vcc
	v_mov_b32_e32 v7, v4
	global_store_dwordx4 v[2:3], v[134:137], off
	v_lshlrev_b64 v[2:3], 4, v[6:7]
	v_add_u32_e32 v6, 0x45e, v178
	v_mad_u64_u32 v[4:5], s[4:5], s12, v6, 0
	v_add_u32_e32 v8, 0x9c, v178
	v_add_co_u32_e32 v2, vcc, v0, v2
	v_mad_u64_u32 v[5:6], s[4:5], s13, v6, v[5:6]
	v_mad_u64_u32 v[6:7], s[4:5], s12, v8, 0
	v_addc_co_u32_e32 v3, vcc, v1, v3, vcc
	global_store_dwordx4 v[2:3], v[138:141], off
	v_lshlrev_b64 v[2:3], 4, v[4:5]
	v_mov_b32_e32 v4, v7
	v_mad_u64_u32 v[4:5], s[4:5], s13, v8, v[4:5]
	v_add_co_u32_e32 v2, vcc, v0, v2
	v_addc_co_u32_e32 v3, vcc, v1, v3, vcc
	v_mov_b32_e32 v7, v4
	global_store_dwordx4 v[2:3], v[102:105], off
	v_lshlrev_b64 v[2:3], 4, v[6:7]
	v_add_u32_e32 v6, 0x1ee, v178
	v_mad_u64_u32 v[4:5], s[4:5], s12, v6, 0
	v_or_b32_e32 v8, 0x340, v178
	v_add_co_u32_e32 v2, vcc, v0, v2
	v_mad_u64_u32 v[5:6], s[4:5], s13, v6, v[5:6]
	v_mad_u64_u32 v[6:7], s[4:5], s12, v8, 0
	v_addc_co_u32_e32 v3, vcc, v1, v3, vcc
	global_store_dwordx4 v[2:3], v[60:63], off
	v_lshlrev_b64 v[2:3], 4, v[4:5]
	v_mov_b32_e32 v4, v7
	v_mad_u64_u32 v[4:5], s[4:5], s13, v8, v[4:5]
	v_add_co_u32_e32 v2, vcc, v0, v2
	v_addc_co_u32_e32 v3, vcc, v1, v3, vcc
	v_mov_b32_e32 v7, v4
	global_store_dwordx4 v[2:3], v[56:59], off
	v_lshlrev_b64 v[2:3], 4, v[6:7]
	v_add_u32_e32 v6, 0x492, v178
	v_mad_u64_u32 v[4:5], s[4:5], s12, v6, 0
	v_add_u32_e32 v7, 0xd0, v178
	v_mul_hi_u32 v8, v7, s6
	v_mad_u64_u32 v[5:6], s[4:5], s13, v6, v[5:6]
	v_add_co_u32_e32 v2, vcc, v0, v2
	v_lshrrev_b32_e32 v6, 7, v8
	v_mad_u32_u24 v8, v6, s3, v7
	v_mad_u64_u32 v[6:7], s[4:5], s12, v8, 0
	v_addc_co_u32_e32 v3, vcc, v1, v3, vcc
	global_store_dwordx4 v[2:3], v[20:23], off
	v_lshlrev_b64 v[2:3], 4, v[4:5]
	v_mov_b32_e32 v4, v7
	v_mad_u64_u32 v[4:5], s[4:5], s13, v8, v[4:5]
	v_add_co_u32_e32 v2, vcc, v0, v2
	v_addc_co_u32_e32 v3, vcc, v1, v3, vcc
	v_mov_b32_e32 v7, v4
	global_store_dwordx4 v[2:3], v[16:19], off
	v_lshlrev_b64 v[2:3], 4, v[6:7]
	v_add_u32_e32 v6, 0x152, v8
	v_mad_u64_u32 v[4:5], s[4:5], s12, v6, 0
	v_fma_f64 v[14:15], v[169:170], 2.0, -v[68:69]
	v_add_u32_e32 v9, 0x2a4, v8
	v_mad_u64_u32 v[5:6], s[4:5], s13, v6, v[5:6]
	v_mad_u64_u32 v[6:7], s[4:5], s12, v9, 0
	v_fma_f64 v[70:71], v[167:168], 2.0, -v[40:41]
	v_add_co_u32_e32 v2, vcc, v0, v2
	v_addc_co_u32_e32 v3, vcc, v1, v3, vcc
	global_store_dwordx4 v[2:3], v[12:15], off
	v_lshlrev_b64 v[2:3], 4, v[4:5]
	v_mov_b32_e32 v4, v7
	v_mad_u64_u32 v[4:5], s[4:5], s13, v9, v[4:5]
	v_add_co_u32_e32 v2, vcc, v0, v2
	v_addc_co_u32_e32 v3, vcc, v1, v3, vcc
	v_mov_b32_e32 v7, v4
	global_store_dwordx4 v[2:3], v[70:73], off
	v_lshlrev_b64 v[2:3], 4, v[6:7]
	v_add_u32_e32 v6, 0x3f6, v8
	v_mad_u64_u32 v[4:5], s[4:5], s12, v6, 0
	v_add_co_u32_e32 v2, vcc, v0, v2
	v_mad_u64_u32 v[5:6], s[4:5], s13, v6, v[5:6]
	v_add_u32_e32 v6, 0x104, v178
	v_mul_hi_u32 v7, v6, s6
	v_addc_co_u32_e32 v3, vcc, v1, v3, vcc
	global_store_dwordx4 v[2:3], v[66:69], off
	v_lshlrev_b64 v[2:3], 4, v[4:5]
	v_lshrrev_b32_e32 v4, 7, v7
	v_mad_u32_u24 v8, v4, s3, v6
	v_mad_u64_u32 v[4:5], s[4:5], s12, v8, 0
	v_add_u32_e32 v9, 0x152, v8
	v_add_co_u32_e32 v2, vcc, v0, v2
	v_mad_u64_u32 v[5:6], s[4:5], s13, v8, v[5:6]
	v_mad_u64_u32 v[6:7], s[4:5], s12, v9, 0
	v_addc_co_u32_e32 v3, vcc, v1, v3, vcc
	global_store_dwordx4 v[2:3], v[40:43], off
	v_lshlrev_b64 v[2:3], 4, v[4:5]
	v_mov_b32_e32 v4, v7
	v_mad_u64_u32 v[4:5], s[4:5], s13, v9, v[4:5]
	v_add_co_u32_e32 v2, vcc, v0, v2
	v_addc_co_u32_e32 v3, vcc, v1, v3, vcc
	v_mov_b32_e32 v7, v4
	global_store_dwordx4 v[2:3], v[36:39], off
	v_lshlrev_b64 v[2:3], 4, v[6:7]
	v_add_u32_e32 v6, 0x2a4, v8
	v_mad_u64_u32 v[4:5], s[4:5], s12, v6, 0
	v_add_u32_e32 v8, 0x3f6, v8
	v_add_co_u32_e32 v2, vcc, v0, v2
	v_mad_u64_u32 v[5:6], s[4:5], s13, v6, v[5:6]
	v_mad_u64_u32 v[6:7], s[4:5], s12, v8, 0
	v_addc_co_u32_e32 v3, vcc, v1, v3, vcc
	global_store_dwordx4 v[2:3], v[32:35], off
	v_lshlrev_b64 v[2:3], 4, v[4:5]
	v_mov_b32_e32 v4, v7
	v_mad_u64_u32 v[4:5], s[4:5], s13, v8, v[4:5]
	v_add_co_u32_e32 v2, vcc, v0, v2
	v_addc_co_u32_e32 v3, vcc, v1, v3, vcc
	v_mov_b32_e32 v7, v4
	global_store_dwordx4 v[2:3], v[28:31], off
	v_lshlrev_b64 v[2:3], 4, v[6:7]
	v_add_co_u32_e32 v2, vcc, v0, v2
	v_addc_co_u32_e32 v3, vcc, v1, v3, vcc
	global_store_dwordx4 v[2:3], v[24:27], off
	s_and_b64 exec, exec, s[0:1]
	s_cbranch_execz .LBB0_20
; %bb.19:
	v_mul_i32_i24_e32 v90, 3, v162
	v_lshlrev_b64 v[2:3], 4, v[90:91]
	v_mov_b32_e32 v4, s9
	v_add_co_u32_e32 v2, vcc, s8, v2
	v_addc_co_u32_e32 v13, vcc, v4, v3, vcc
	v_add_co_u32_e32 v10, vcc, 0x1500, v2
	v_addc_co_u32_e32 v11, vcc, 0, v13, vcc
	;; [unrolled: 2-line block ×3, first 2 shown]
	global_load_dwordx4 v[2:5], v[10:11], off offset:32
	global_load_dwordx4 v[6:9], v[10:11], off offset:16
	v_add_u32_e32 v22, 0x138, v178
	global_load_dwordx4 v[10:13], v[12:13], off offset:1280
	v_add_u32_e32 v24, 0x28a, v178
	v_add_u32_e32 v25, 0x3dc, v178
	v_mad_u64_u32 v[14:15], s[0:1], s12, v22, 0
	v_mad_u64_u32 v[16:17], s[0:1], s12, v24, 0
	v_add_u32_e32 v31, 0x52e, v178
	v_mad_u64_u32 v[18:19], s[0:1], s12, v25, 0
	v_mad_u64_u32 v[20:21], s[0:1], s12, v31, 0
	;; [unrolled: 1-line block ×6, first 2 shown]
	v_mov_b32_e32 v15, v22
	v_mov_b32_e32 v17, v23
	;; [unrolled: 1-line block ×3, first 2 shown]
	v_lshlrev_b64 v[18:19], 4, v[18:19]
	v_mov_b32_e32 v21, v31
	v_lshlrev_b64 v[20:21], 4, v[20:21]
	s_waitcnt vmcnt(2)
	v_mul_f64 v[27:28], v[88:89], v[4:5]
	s_waitcnt vmcnt(1)
	v_mul_f64 v[25:26], v[86:87], v[8:9]
	v_mul_f64 v[8:9], v[78:79], v[8:9]
	;; [unrolled: 1-line block ×3, first 2 shown]
	s_waitcnt vmcnt(0)
	v_mul_f64 v[29:30], v[84:85], v[12:13]
	v_mul_f64 v[12:13], v[76:77], v[12:13]
	v_fma_f64 v[25:26], v[78:79], v[6:7], v[25:26]
	v_fma_f64 v[6:7], v[86:87], v[6:7], -v[8:9]
	v_fma_f64 v[8:9], v[80:81], v[2:3], v[27:28]
	v_fma_f64 v[2:3], v[88:89], v[2:3], -v[4:5]
	;; [unrolled: 2-line block ×3, first 2 shown]
	v_add_f64 v[12:13], v[74:75], -v[25:26]
	v_add_f64 v[22:23], v[82:83], -v[6:7]
	;; [unrolled: 1-line block ×4, first 2 shown]
	v_lshlrev_b64 v[8:9], 4, v[14:15]
	v_lshlrev_b64 v[14:15], 4, v[16:17]
	v_fma_f64 v[16:17], v[74:75], 2.0, -v[12:13]
	v_fma_f64 v[24:25], v[82:83], 2.0, -v[22:23]
	v_add_co_u32_e32 v28, vcc, v0, v8
	v_fma_f64 v[26:27], v[4:5], 2.0, -v[6:7]
	v_fma_f64 v[10:11], v[10:11], 2.0, -v[2:3]
	v_addc_co_u32_e32 v29, vcc, v1, v9, vcc
	v_add_f64 v[4:5], v[22:23], -v[6:7]
	v_add_f64 v[2:3], v[12:13], v[2:3]
	v_add_f64 v[6:7], v[16:17], -v[26:27]
	v_add_f64 v[8:9], v[24:25], -v[10:11]
	v_add_co_u32_e32 v26, vcc, v0, v14
	v_addc_co_u32_e32 v27, vcc, v1, v15, vcc
	v_fma_f64 v[10:11], v[12:13], 2.0, -v[2:3]
	v_fma_f64 v[12:13], v[22:23], 2.0, -v[4:5]
	;; [unrolled: 1-line block ×4, first 2 shown]
	v_add_co_u32_e32 v18, vcc, v0, v18
	v_addc_co_u32_e32 v19, vcc, v1, v19, vcc
	v_add_co_u32_e32 v0, vcc, v0, v20
	v_addc_co_u32_e32 v1, vcc, v1, v21, vcc
	global_store_dwordx4 v[28:29], v[14:17], off
	global_store_dwordx4 v[26:27], v[10:13], off
	;; [unrolled: 1-line block ×4, first 2 shown]
.LBB0_20:
	s_endpgm
	.section	.rodata,"a",@progbits
	.p2align	6, 0x0
	.amdhsa_kernel fft_rtc_back_len1352_factors_2_13_13_4_wgs_52_tpt_52_halfLds_dp_ip_CI_sbrr_dirReg
		.amdhsa_group_segment_fixed_size 0
		.amdhsa_private_segment_fixed_size 0
		.amdhsa_kernarg_size 88
		.amdhsa_user_sgpr_count 6
		.amdhsa_user_sgpr_private_segment_buffer 1
		.amdhsa_user_sgpr_dispatch_ptr 0
		.amdhsa_user_sgpr_queue_ptr 0
		.amdhsa_user_sgpr_kernarg_segment_ptr 1
		.amdhsa_user_sgpr_dispatch_id 0
		.amdhsa_user_sgpr_flat_scratch_init 0
		.amdhsa_user_sgpr_private_segment_size 0
		.amdhsa_uses_dynamic_stack 0
		.amdhsa_system_sgpr_private_segment_wavefront_offset 0
		.amdhsa_system_sgpr_workgroup_id_x 1
		.amdhsa_system_sgpr_workgroup_id_y 0
		.amdhsa_system_sgpr_workgroup_id_z 0
		.amdhsa_system_sgpr_workgroup_info 0
		.amdhsa_system_vgpr_workitem_id 0
		.amdhsa_next_free_vgpr 253
		.amdhsa_next_free_sgpr 48
		.amdhsa_reserve_vcc 1
		.amdhsa_reserve_flat_scratch 0
		.amdhsa_float_round_mode_32 0
		.amdhsa_float_round_mode_16_64 0
		.amdhsa_float_denorm_mode_32 3
		.amdhsa_float_denorm_mode_16_64 3
		.amdhsa_dx10_clamp 1
		.amdhsa_ieee_mode 1
		.amdhsa_fp16_overflow 0
		.amdhsa_exception_fp_ieee_invalid_op 0
		.amdhsa_exception_fp_denorm_src 0
		.amdhsa_exception_fp_ieee_div_zero 0
		.amdhsa_exception_fp_ieee_overflow 0
		.amdhsa_exception_fp_ieee_underflow 0
		.amdhsa_exception_fp_ieee_inexact 0
		.amdhsa_exception_int_div_zero 0
	.end_amdhsa_kernel
	.text
.Lfunc_end0:
	.size	fft_rtc_back_len1352_factors_2_13_13_4_wgs_52_tpt_52_halfLds_dp_ip_CI_sbrr_dirReg, .Lfunc_end0-fft_rtc_back_len1352_factors_2_13_13_4_wgs_52_tpt_52_halfLds_dp_ip_CI_sbrr_dirReg
                                        ; -- End function
	.section	.AMDGPU.csdata,"",@progbits
; Kernel info:
; codeLenInByte = 24336
; NumSgprs: 52
; NumVgprs: 253
; ScratchSize: 0
; MemoryBound: 1
; FloatMode: 240
; IeeeMode: 1
; LDSByteSize: 0 bytes/workgroup (compile time only)
; SGPRBlocks: 6
; VGPRBlocks: 63
; NumSGPRsForWavesPerEU: 52
; NumVGPRsForWavesPerEU: 253
; Occupancy: 1
; WaveLimiterHint : 1
; COMPUTE_PGM_RSRC2:SCRATCH_EN: 0
; COMPUTE_PGM_RSRC2:USER_SGPR: 6
; COMPUTE_PGM_RSRC2:TRAP_HANDLER: 0
; COMPUTE_PGM_RSRC2:TGID_X_EN: 1
; COMPUTE_PGM_RSRC2:TGID_Y_EN: 0
; COMPUTE_PGM_RSRC2:TGID_Z_EN: 0
; COMPUTE_PGM_RSRC2:TIDIG_COMP_CNT: 0
	.type	__hip_cuid_b889b572dd4901d6,@object ; @__hip_cuid_b889b572dd4901d6
	.section	.bss,"aw",@nobits
	.globl	__hip_cuid_b889b572dd4901d6
__hip_cuid_b889b572dd4901d6:
	.byte	0                               ; 0x0
	.size	__hip_cuid_b889b572dd4901d6, 1

	.ident	"AMD clang version 19.0.0git (https://github.com/RadeonOpenCompute/llvm-project roc-6.4.0 25133 c7fe45cf4b819c5991fe208aaa96edf142730f1d)"
	.section	".note.GNU-stack","",@progbits
	.addrsig
	.addrsig_sym __hip_cuid_b889b572dd4901d6
	.amdgpu_metadata
---
amdhsa.kernels:
  - .args:
      - .actual_access:  read_only
        .address_space:  global
        .offset:         0
        .size:           8
        .value_kind:     global_buffer
      - .offset:         8
        .size:           8
        .value_kind:     by_value
      - .actual_access:  read_only
        .address_space:  global
        .offset:         16
        .size:           8
        .value_kind:     global_buffer
      - .actual_access:  read_only
        .address_space:  global
        .offset:         24
        .size:           8
        .value_kind:     global_buffer
      - .offset:         32
        .size:           8
        .value_kind:     by_value
      - .actual_access:  read_only
        .address_space:  global
        .offset:         40
        .size:           8
        .value_kind:     global_buffer
      - .actual_access:  read_only
        .address_space:  global
        .offset:         48
        .size:           8
        .value_kind:     global_buffer
      - .offset:         56
        .size:           4
        .value_kind:     by_value
      - .actual_access:  read_only
        .address_space:  global
        .offset:         64
        .size:           8
        .value_kind:     global_buffer
      - .actual_access:  read_only
        .address_space:  global
        .offset:         72
        .size:           8
        .value_kind:     global_buffer
      - .address_space:  global
        .offset:         80
        .size:           8
        .value_kind:     global_buffer
    .group_segment_fixed_size: 0
    .kernarg_segment_align: 8
    .kernarg_segment_size: 88
    .language:       OpenCL C
    .language_version:
      - 2
      - 0
    .max_flat_workgroup_size: 52
    .name:           fft_rtc_back_len1352_factors_2_13_13_4_wgs_52_tpt_52_halfLds_dp_ip_CI_sbrr_dirReg
    .private_segment_fixed_size: 0
    .sgpr_count:     52
    .sgpr_spill_count: 0
    .symbol:         fft_rtc_back_len1352_factors_2_13_13_4_wgs_52_tpt_52_halfLds_dp_ip_CI_sbrr_dirReg.kd
    .uniform_work_group_size: 1
    .uses_dynamic_stack: false
    .vgpr_count:     253
    .vgpr_spill_count: 0
    .wavefront_size: 64
amdhsa.target:   amdgcn-amd-amdhsa--gfx906
amdhsa.version:
  - 1
  - 2
...

	.end_amdgpu_metadata
